;; amdgpu-corpus repo=ROCm/rocFFT kind=compiled arch=gfx906 opt=O3
	.text
	.amdgcn_target "amdgcn-amd-amdhsa--gfx906"
	.amdhsa_code_object_version 6
	.protected	bluestein_single_fwd_len1536_dim1_half_op_CI_CI ; -- Begin function bluestein_single_fwd_len1536_dim1_half_op_CI_CI
	.globl	bluestein_single_fwd_len1536_dim1_half_op_CI_CI
	.p2align	8
	.type	bluestein_single_fwd_len1536_dim1_half_op_CI_CI,@function
bluestein_single_fwd_len1536_dim1_half_op_CI_CI: ; @bluestein_single_fwd_len1536_dim1_half_op_CI_CI
; %bb.0:
	s_load_dwordx4 s[0:3], s[4:5], 0x28
	s_mov_b32 s7, 0
	s_waitcnt lgkmcnt(0)
	v_mov_b32_e32 v1, s0
	v_mov_b32_e32 v2, s1
	v_cmp_lt_u64_e32 vcc, s[6:7], v[1:2]
	s_and_saveexec_b64 s[0:1], vcc
	s_cbranch_execz .LBB0_23
; %bb.1:
	s_load_dwordx2 s[12:13], s[4:5], 0x0
	s_load_dwordx2 s[14:15], s[4:5], 0x38
	v_mov_b32_e32 v22, s7
	s_movk_i32 s0, 0x60
	v_mov_b32_e32 v21, s6
	v_cmp_gt_u32_e32 vcc, s0, v0
	v_lshlrev_b32_e32 v38, 2, v0
	s_and_saveexec_b64 s[6:7], vcc
	s_cbranch_execz .LBB0_3
; %bb.2:
	s_load_dwordx2 s[0:1], s[4:5], 0x18
	v_mov_b32_e32 v20, 0x300
	s_waitcnt lgkmcnt(0)
	s_load_dwordx4 s[8:11], s[0:1], 0x0
	s_waitcnt lgkmcnt(0)
	v_mad_u64_u32 v[1:2], s[0:1], s10, v21, 0
	v_mad_u64_u32 v[3:4], s[0:1], s8, v0, 0
	s_mul_i32 s10, s9, 0x300
	v_mad_u64_u32 v[5:6], s[0:1], s11, v21, v[2:3]
	v_mad_u64_u32 v[6:7], s[0:1], s9, v0, v[4:5]
	v_mov_b32_e32 v2, v5
	v_lshlrev_b64 v[1:2], 2, v[1:2]
	v_mov_b32_e32 v4, v6
	v_mov_b32_e32 v7, s3
	v_lshlrev_b64 v[3:4], 2, v[3:4]
	v_add_co_u32_e64 v8, s[0:1], s2, v1
	v_addc_co_u32_e64 v7, s[0:1], v7, v2, s[0:1]
	v_add_co_u32_e64 v1, s[0:1], v8, v3
	v_addc_co_u32_e64 v2, s[0:1], v7, v4, s[0:1]
	s_mul_i32 s0, s9, 0x180
	s_mul_hi_u32 s3, s8, 0x180
	s_add_i32 s3, s3, s0
	s_mul_i32 s2, s8, 0x180
	v_mov_b32_e32 v4, s3
	v_add_co_u32_e64 v3, s[0:1], s2, v1
	v_addc_co_u32_e64 v4, s[0:1], v2, v4, s[0:1]
	global_load_dword v6, v[1:2], off
	global_load_dword v9, v[3:4], off
	global_load_dword v10, v38, s[12:13]
	global_load_dword v11, v38, s[12:13] offset:384
	v_mov_b32_e32 v2, s3
	v_add_co_u32_e64 v1, s[0:1], s2, v3
	v_addc_co_u32_e64 v2, s[0:1], v4, v2, s[0:1]
	global_load_dword v12, v[1:2], off
	global_load_dword v13, v38, s[12:13] offset:768
	v_mov_b32_e32 v3, s3
	v_add_co_u32_e64 v1, s[0:1], s2, v1
	v_addc_co_u32_e64 v2, s[0:1], v2, v3, s[0:1]
	global_load_dword v14, v[1:2], off
	global_load_dword v15, v38, s[12:13] offset:1152
	v_or_b32_e32 v5, 0x180, v0
	v_mad_u64_u32 v[3:4], s[0:1], s8, v5, 0
	v_mad_u64_u32 v[1:2], s[0:1], s8, v20, v[1:2]
	;; [unrolled: 1-line block ×3, first 2 shown]
	global_load_dword v16, v38, s[12:13] offset:1536
	global_load_dword v17, v38, s[12:13] offset:1920
	;; [unrolled: 1-line block ×4, first 2 shown]
	v_add_u32_e32 v2, s10, v2
	v_lshlrev_b64 v[3:4], 2, v[3:4]
	v_mov_b32_e32 v5, s3
	v_add_co_u32_e64 v3, s[0:1], v8, v3
	v_addc_co_u32_e64 v4, s[0:1], v7, v4, s[0:1]
	global_load_dword v24, v[3:4], off
	global_load_dword v25, v[1:2], off
	v_add_co_u32_e64 v1, s[0:1], s2, v1
	v_addc_co_u32_e64 v2, s[0:1], v2, v5, s[0:1]
	v_mov_b32_e32 v22, s3
	global_load_dword v26, v[1:2], off
	v_add_co_u32_e64 v1, s[0:1], s2, v1
	v_addc_co_u32_e64 v2, s[0:1], v2, v22, s[0:1]
	v_mov_b32_e32 v23, s3
	;; [unrolled: 4-line block ×3, first 2 shown]
	s_waitcnt vmcnt(15)
	v_lshrrev_b32_e32 v3, 16, v6
	s_waitcnt vmcnt(14)
	v_lshrrev_b32_e32 v5, 16, v9
	s_waitcnt vmcnt(13)
	v_mul_f16_sdwa v4, v10, v6 dst_sel:DWORD dst_unused:UNUSED_PAD src0_sel:WORD_1 src1_sel:DWORD
	v_fma_f16 v4, v10, v3, -v4
	v_mul_f16_sdwa v3, v10, v3 dst_sel:DWORD dst_unused:UNUSED_PAD src0_sel:WORD_1 src1_sel:DWORD
	s_waitcnt vmcnt(12)
	v_mul_f16_sdwa v27, v11, v9 dst_sel:DWORD dst_unused:UNUSED_PAD src0_sel:WORD_1 src1_sel:DWORD
	v_fma_f16 v3, v10, v6, v3
	v_fma_f16 v6, v11, v5, -v27
	v_mul_f16_sdwa v5, v11, v5 dst_sel:DWORD dst_unused:UNUSED_PAD src0_sel:WORD_1 src1_sel:DWORD
	s_waitcnt vmcnt(11)
	v_lshrrev_b32_e32 v10, 16, v12
	s_waitcnt vmcnt(10)
	v_mul_f16_sdwa v27, v13, v12 dst_sel:DWORD dst_unused:UNUSED_PAD src0_sel:WORD_1 src1_sel:DWORD
	v_fma_f16 v5, v11, v9, v5
	v_fma_f16 v9, v13, v10, -v27
	v_mul_f16_sdwa v10, v13, v10 dst_sel:DWORD dst_unused:UNUSED_PAD src0_sel:WORD_1 src1_sel:DWORD
	v_pack_b32_f16 v3, v3, v4
	s_waitcnt vmcnt(9)
	v_lshrrev_b32_e32 v4, 16, v14
	s_waitcnt vmcnt(8)
	v_mul_f16_sdwa v11, v15, v14 dst_sel:DWORD dst_unused:UNUSED_PAD src0_sel:WORD_1 src1_sel:DWORD
	v_pack_b32_f16 v5, v5, v6
	v_fma_f16 v10, v13, v12, v10
	v_fma_f16 v11, v15, v4, -v11
	v_mul_f16_sdwa v12, v15, v4 dst_sel:DWORD dst_unused:UNUSED_PAD src0_sel:WORD_1 src1_sel:DWORD
	ds_write2_b32 v38, v3, v5 offset1:96
	v_mov_b32_e32 v4, s3
	v_add_co_u32_e64 v3, s[0:1], s2, v1
	v_or_b32_e32 v27, 0x480, v0
	v_addc_co_u32_e64 v4, s[0:1], v2, v4, s[0:1]
	global_load_dword v13, v[1:2], off
	global_load_dword v23, v[3:4], off
	v_mad_u64_u32 v[1:2], s[0:1], s8, v27, 0
	global_load_dword v28, v38, s[12:13] offset:3072
	global_load_dword v29, v38, s[12:13] offset:3456
	;; [unrolled: 1-line block ×3, first 2 shown]
	v_fma_f16 v12, v15, v14, v12
	v_mad_u64_u32 v[5:6], s[0:1], s9, v27, v[2:3]
	v_add_co_u32_e64 v3, s[0:1], s2, v3
	v_addc_co_u32_e64 v4, s[0:1], v4, v31, s[0:1]
	v_mov_b32_e32 v6, s13
	v_add_co_u32_e64 v31, s[0:1], s12, v38
	v_addc_co_u32_e64 v32, s[0:1], 0, v6, s[0:1]
	v_mov_b32_e32 v2, v5
	v_mov_b32_e32 v6, s3
	v_add_co_u32_e64 v5, s[0:1], s2, v3
	v_addc_co_u32_e64 v6, s[0:1], v4, v6, s[0:1]
	global_load_dword v33, v[3:4], off
	global_load_dword v34, v[5:6], off
	s_movk_i32 s0, 0x1000
	v_add_co_u32_e64 v3, s[0:1], s0, v31
	v_lshlrev_b64 v[1:2], 2, v[1:2]
	v_addc_co_u32_e64 v4, s[0:1], 0, v32, s[0:1]
	global_load_dword v31, v[3:4], off offset:128
	v_add_co_u32_e64 v1, s[0:1], v8, v1
	v_addc_co_u32_e64 v2, s[0:1], v7, v2, s[0:1]
	v_mad_u64_u32 v[5:6], s[0:1], s8, v20, v[5:6]
	global_load_dword v7, v[1:2], off
	v_lshlrev_b32_e32 v1, 2, v27
	global_load_dword v8, v1, s[12:13]
	v_add_u32_e32 v6, s10, v6
	global_load_dword v20, v[5:6], off
	global_load_dword v27, v[3:4], off offset:896
	v_mov_b32_e32 v2, s3
	v_add_co_u32_e64 v1, s[0:1], s2, v5
	v_addc_co_u32_e64 v2, s[0:1], v6, v2, s[0:1]
	global_load_dword v6, v[1:2], off
	global_load_dword v32, v[3:4], off offset:1280
	v_mov_b32_e32 v5, s3
	v_add_co_u32_e64 v1, s[0:1], s2, v1
	v_addc_co_u32_e64 v2, s[0:1], v2, v5, s[0:1]
	global_load_dword v5, v[1:2], off
	global_load_dword v35, v[3:4], off offset:1664
	s_waitcnt vmcnt(19)
	v_lshrrev_b32_e32 v14, 16, v24
	v_mul_f16_sdwa v15, v16, v24 dst_sel:DWORD dst_unused:UNUSED_PAD src0_sel:WORD_1 src1_sel:DWORD
	v_mul_f16_sdwa v2, v16, v14 dst_sel:DWORD dst_unused:UNUSED_PAD src0_sel:WORD_1 src1_sel:DWORD
	v_fma_f16 v1, v16, v14, -v15
	v_fma_f16 v2, v16, v24, v2
	v_add_u32_e32 v3, 0x200, v38
	v_pack_b32_f16 v4, v10, v9
	v_pack_b32_f16 v9, v12, v11
	;; [unrolled: 1-line block ×3, first 2 shown]
	s_waitcnt vmcnt(18)
	v_lshrrev_b32_e32 v2, 16, v25
	ds_write2_b32 v3, v4, v9 offset0:64 offset1:160
	v_mul_f16_sdwa v3, v17, v2 dst_sel:DWORD dst_unused:UNUSED_PAD src0_sel:WORD_1 src1_sel:DWORD
	v_mul_f16_sdwa v4, v17, v25 dst_sel:DWORD dst_unused:UNUSED_PAD src0_sel:WORD_1 src1_sel:DWORD
	v_fma_f16 v3, v17, v25, v3
	v_fma_f16 v2, v17, v2, -v4
	v_pack_b32_f16 v2, v3, v2
	v_add_u32_e32 v3, 0x400, v38
	ds_write2_b32 v3, v1, v2 offset0:128 offset1:224
	s_waitcnt vmcnt(17)
	v_lshrrev_b32_e32 v1, 16, v26
	v_mul_f16_sdwa v2, v18, v1 dst_sel:DWORD dst_unused:UNUSED_PAD src0_sel:WORD_1 src1_sel:DWORD
	v_mul_f16_sdwa v3, v18, v26 dst_sel:DWORD dst_unused:UNUSED_PAD src0_sel:WORD_1 src1_sel:DWORD
	v_fma_f16 v2, v18, v26, v2
	v_fma_f16 v1, v18, v1, -v3
	v_pack_b32_f16 v1, v2, v1
	s_waitcnt vmcnt(16)
	v_lshrrev_b32_e32 v2, 16, v22
	v_mul_f16_sdwa v3, v19, v2 dst_sel:DWORD dst_unused:UNUSED_PAD src0_sel:WORD_1 src1_sel:DWORD
	v_mul_f16_sdwa v4, v19, v22 dst_sel:DWORD dst_unused:UNUSED_PAD src0_sel:WORD_1 src1_sel:DWORD
	v_fma_f16 v3, v19, v22, v3
	v_fma_f16 v2, v19, v2, -v4
	v_pack_b32_f16 v2, v3, v2
	v_add_u32_e32 v3, 0x800, v38
	ds_write2_b32 v3, v1, v2 offset0:64 offset1:160
	s_waitcnt vmcnt(15)
	v_lshrrev_b32_e32 v1, 16, v13
	s_waitcnt vmcnt(13)
	v_mul_f16_sdwa v3, v28, v13 dst_sel:DWORD dst_unused:UNUSED_PAD src0_sel:WORD_1 src1_sel:DWORD
	v_mul_f16_sdwa v2, v28, v1 dst_sel:DWORD dst_unused:UNUSED_PAD src0_sel:WORD_1 src1_sel:DWORD
	v_fma_f16 v1, v28, v1, -v3
	v_lshrrev_b32_e32 v3, 16, v23
	s_waitcnt vmcnt(12)
	v_mul_f16_sdwa v4, v29, v3 dst_sel:DWORD dst_unused:UNUSED_PAD src0_sel:WORD_1 src1_sel:DWORD
	v_mul_f16_sdwa v9, v29, v23 dst_sel:DWORD dst_unused:UNUSED_PAD src0_sel:WORD_1 src1_sel:DWORD
	v_fma_f16 v2, v28, v13, v2
	v_fma_f16 v4, v29, v23, v4
	v_fma_f16 v3, v29, v3, -v9
	v_pack_b32_f16 v1, v2, v1
	v_pack_b32_f16 v2, v4, v3
	v_add_u32_e32 v3, 0xc00, v38
	ds_write2_b32 v3, v1, v2 offset1:96
	s_waitcnt vmcnt(10)
	v_lshrrev_b32_e32 v1, 16, v33
	v_mul_f16_sdwa v2, v30, v1 dst_sel:DWORD dst_unused:UNUSED_PAD src0_sel:WORD_1 src1_sel:DWORD
	v_mul_f16_sdwa v3, v30, v33 dst_sel:DWORD dst_unused:UNUSED_PAD src0_sel:WORD_1 src1_sel:DWORD
	v_fma_f16 v2, v30, v33, v2
	v_fma_f16 v1, v30, v1, -v3
	v_pack_b32_f16 v1, v2, v1
	s_waitcnt vmcnt(9)
	v_lshrrev_b32_e32 v2, 16, v34
	s_waitcnt vmcnt(8)
	v_mul_f16_sdwa v3, v31, v2 dst_sel:DWORD dst_unused:UNUSED_PAD src0_sel:WORD_1 src1_sel:DWORD
	v_mul_f16_sdwa v4, v31, v34 dst_sel:DWORD dst_unused:UNUSED_PAD src0_sel:WORD_1 src1_sel:DWORD
	v_fma_f16 v3, v31, v34, v3
	v_fma_f16 v2, v31, v2, -v4
	v_pack_b32_f16 v2, v3, v2
	v_add_u32_e32 v3, 0xe00, v38
	ds_write2_b32 v3, v1, v2 offset0:64 offset1:160
	s_waitcnt vmcnt(7)
	v_lshrrev_b32_e32 v1, 16, v7
	s_waitcnt vmcnt(6)
	v_mul_f16_sdwa v2, v8, v1 dst_sel:DWORD dst_unused:UNUSED_PAD src0_sel:WORD_1 src1_sel:DWORD
	v_mul_f16_sdwa v3, v8, v7 dst_sel:DWORD dst_unused:UNUSED_PAD src0_sel:WORD_1 src1_sel:DWORD
	v_fma_f16 v2, v8, v7, v2
	v_fma_f16 v1, v8, v1, -v3
	v_pack_b32_f16 v1, v2, v1
	s_waitcnt vmcnt(5)
	v_lshrrev_b32_e32 v2, 16, v20
	s_waitcnt vmcnt(4)
	v_mul_f16_sdwa v3, v27, v2 dst_sel:DWORD dst_unused:UNUSED_PAD src0_sel:WORD_1 src1_sel:DWORD
	v_mul_f16_sdwa v4, v27, v20 dst_sel:DWORD dst_unused:UNUSED_PAD src0_sel:WORD_1 src1_sel:DWORD
	v_fma_f16 v3, v27, v20, v3
	v_fma_f16 v2, v27, v2, -v4
	v_pack_b32_f16 v2, v3, v2
	v_add_u32_e32 v3, 0x1000, v38
	ds_write2_b32 v3, v1, v2 offset0:128 offset1:224
	s_waitcnt vmcnt(3)
	v_lshrrev_b32_e32 v1, 16, v6
	s_waitcnt vmcnt(2)
	v_mul_f16_sdwa v2, v32, v1 dst_sel:DWORD dst_unused:UNUSED_PAD src0_sel:WORD_1 src1_sel:DWORD
	v_mul_f16_sdwa v3, v32, v6 dst_sel:DWORD dst_unused:UNUSED_PAD src0_sel:WORD_1 src1_sel:DWORD
	v_fma_f16 v2, v32, v6, v2
	v_fma_f16 v1, v32, v1, -v3
	v_pack_b32_f16 v1, v2, v1
	s_waitcnt vmcnt(1)
	v_lshrrev_b32_e32 v2, 16, v5
	s_waitcnt vmcnt(0)
	v_mul_f16_sdwa v3, v35, v2 dst_sel:DWORD dst_unused:UNUSED_PAD src0_sel:WORD_1 src1_sel:DWORD
	v_mul_f16_sdwa v4, v35, v5 dst_sel:DWORD dst_unused:UNUSED_PAD src0_sel:WORD_1 src1_sel:DWORD
	v_fma_f16 v3, v35, v5, v3
	v_fma_f16 v2, v35, v2, -v4
	v_pack_b32_f16 v2, v3, v2
	v_add_u32_e32 v3, 0x1400, v38
	ds_write2_b32 v3, v1, v2 offset0:64 offset1:160
.LBB0_3:
	s_or_b64 exec, exec, s[6:7]
	s_waitcnt lgkmcnt(0)
	s_barrier
	s_waitcnt lgkmcnt(0)
                                        ; implicit-def: $vgpr1
                                        ; implicit-def: $vgpr16
                                        ; implicit-def: $vgpr5
                                        ; implicit-def: $vgpr12
                                        ; implicit-def: $vgpr3
                                        ; implicit-def: $vgpr10
                                        ; implicit-def: $vgpr7
                                        ; implicit-def: $vgpr14
                                        ; implicit-def: $vgpr15
	s_and_saveexec_b64 s[0:1], vcc
	s_cbranch_execz .LBB0_5
; %bb.4:
	v_add_u32_e32 v3, 0x200, v38
	v_add_u32_e32 v5, 0x400, v38
	;; [unrolled: 1-line block ×6, first 2 shown]
	ds_read2_b32 v[1:2], v38 offset1:96
	ds_read2_b32 v[3:4], v3 offset0:64 offset1:160
	ds_read2_b32 v[5:6], v5 offset0:128 offset1:224
	;; [unrolled: 1-line block ×6, first 2 shown]
	ds_read_b32 v16, v38 offset:3072
	ds_read_b32 v15, v38 offset:5760
.LBB0_5:
	s_or_b64 exec, exec, s[0:1]
	s_waitcnt lgkmcnt(1)
	v_pk_add_f16 v16, v1, v16 neg_lo:[0,1] neg_hi:[0,1]
	v_pk_add_f16 v12, v5, v12 neg_lo:[0,1] neg_hi:[0,1]
	;; [unrolled: 1-line block ×4, first 2 shown]
	v_lshrrev_b32_e32 v17, 16, v16
	v_lshrrev_b32_e32 v19, 16, v10
	v_sub_f16_sdwa v24, v16, v12 dst_sel:DWORD dst_unused:UNUSED_PAD src0_sel:DWORD src1_sel:WORD_1
	v_sub_f16_sdwa v23, v10, v14 dst_sel:DWORD dst_unused:UNUSED_PAD src0_sel:DWORD src1_sel:WORD_1
	v_add_f16_e32 v18, v12, v17
	v_add_f16_e32 v20, v14, v19
	s_mov_b32 s0, 0xb9a8
	v_fma_f16 v22, v16, 2.0, -v24
	v_fma_f16 v25, v10, 2.0, -v23
	;; [unrolled: 1-line block ×4, first 2 shown]
	v_fma_f16 v26, v25, s0, v22
	v_pk_add_f16 v9, v2, v9 neg_lo:[0,1] neg_hi:[0,1]
	v_pk_add_f16 v13, v6, v13 neg_lo:[0,1] neg_hi:[0,1]
	;; [unrolled: 1-line block ×3, first 2 shown]
	v_fma_f16 v32, v19, s0, v26
	v_fma_f16 v19, v19, s0, v17
	s_movk_i32 s1, 0x39a8
	v_pk_fma_f16 v3, v3, 2.0, v10 op_sel_hi:[1,0,1] neg_lo:[0,0,1] neg_hi:[0,0,1]
	s_waitcnt lgkmcnt(0)
	v_pk_add_f16 v10, v8, v15 neg_lo:[0,1] neg_hi:[0,1]
	v_fma_f16 v19, v25, s1, v19
	v_fma_f16 v25, v23, s1, v24
	v_pk_fma_f16 v1, v1, 2.0, v16 op_sel_hi:[1,0,1] neg_lo:[0,0,1] neg_hi:[0,0,1]
	v_pk_fma_f16 v5, v5, 2.0, v12 op_sel_hi:[1,0,1] neg_lo:[0,0,1] neg_hi:[0,0,1]
	;; [unrolled: 1-line block ×3, first 2 shown]
	v_sub_f16_sdwa v12, v9, v13 dst_sel:DWORD dst_unused:UNUSED_PAD src0_sel:DWORD src1_sel:WORD_1
	v_lshrrev_b32_e32 v14, 16, v9
	v_sub_f16_sdwa v15, v11, v10 dst_sel:DWORD dst_unused:UNUSED_PAD src0_sel:DWORD src1_sel:WORD_1
	v_lshrrev_b32_e32 v16, 16, v11
	v_fma_f16 v27, v20, s0, v25
	v_fma_f16 v20, v20, s1, v18
	v_pk_fma_f16 v2, v2, 2.0, v9 op_sel_hi:[1,0,1] neg_lo:[0,0,1] neg_hi:[0,0,1]
	v_pk_fma_f16 v6, v6, 2.0, v13 op_sel_hi:[1,0,1] neg_lo:[0,0,1] neg_hi:[0,0,1]
	v_pk_fma_f16 v4, v4, 2.0, v11 op_sel_hi:[1,0,1] neg_lo:[0,0,1] neg_hi:[0,0,1]
	v_pk_fma_f16 v8, v8, 2.0, v10 op_sel_hi:[1,0,1] neg_lo:[0,0,1] neg_hi:[0,0,1]
	v_add_f16_e32 v13, v13, v14
	v_fma_f16 v9, v9, 2.0, -v12
	v_add_f16_e32 v10, v10, v16
	v_fma_f16 v11, v11, 2.0, -v15
	v_fma_f16 v20, v23, s1, v20
	v_fma_f16 v14, v14, 2.0, -v13
	v_fma_f16 v16, v16, 2.0, -v10
	v_fma_f16 v23, v11, s0, v9
	v_fma_f16 v28, v16, s0, v23
	;; [unrolled: 1-line block ×7, first 2 shown]
	v_pk_add_f16 v6, v2, v6 neg_lo:[0,1] neg_hi:[0,1]
	v_fma_f16 v10, v15, s1, v10
	v_fma_f16 v15, v22, 2.0, -v32
	v_pk_add_f16 v8, v4, v8 neg_lo:[0,1] neg_hi:[0,1]
	v_lshrrev_b32_e32 v22, 16, v6
	v_fma_f16 v17, v17, 2.0, -v19
	v_fma_f16 v14, v14, 2.0, -v11
	v_pk_fma_f16 v4, v4, 2.0, v8 op_sel_hi:[1,0,1] neg_lo:[0,0,1] neg_hi:[0,0,1]
	v_sub_f16_sdwa v29, v6, v8 dst_sel:DWORD dst_unused:UNUSED_PAD src0_sel:DWORD src1_sel:WORD_1
	v_add_f16_e32 v8, v8, v22
	s_mov_b32 s2, 0xbb64
	v_fma_f16 v9, v9, 2.0, -v28
	v_fma_f16 v25, v22, 2.0, -v8
	s_movk_i32 s3, 0x361f
	v_fma_f16 v22, v14, s2, v17
	v_pk_add_f16 v5, v1, v5 neg_lo:[0,1] neg_hi:[0,1]
	v_pk_add_f16 v7, v3, v7 neg_lo:[0,1] neg_hi:[0,1]
	v_fma_f16 v36, v9, s3, v22
	v_fma_f16 v9, v9, s2, v15
	s_mov_b32 s6, 0xb61f
	v_fma_f16 v22, v14, s6, v9
	v_sub_f16_sdwa v9, v5, v7 dst_sel:DWORD dst_unused:UNUSED_PAD src0_sel:DWORD src1_sel:WORD_1
	v_fma_f16 v14, v5, 2.0, -v9
	v_pk_fma_f16 v1, v1, 2.0, v5 op_sel_hi:[1,0,1] neg_lo:[0,0,1] neg_hi:[0,0,1]
	v_lshrrev_b32_e32 v5, 16, v5
	v_pk_fma_f16 v2, v2, 2.0, v6 op_sel_hi:[1,0,1] neg_lo:[0,0,1] neg_hi:[0,0,1]
	v_fma_f16 v6, v6, 2.0, -v29
	v_pk_fma_f16 v3, v3, 2.0, v7 op_sel_hi:[1,0,1] neg_lo:[0,0,1] neg_hi:[0,0,1]
	v_add_f16_e32 v7, v7, v5
	v_fma_f16 v23, v6, s0, v14
	v_fma_f16 v5, v5, 2.0, -v7
	v_fma_f16 v23, v25, s0, v23
	v_fma_f16 v25, v25, s0, v5
	v_fma_f16 v18, v18, 2.0, -v20
	v_fma_f16 v13, v13, 2.0, -v10
	v_fma_f16 v37, v6, s1, v25
	v_fma_f16 v6, v24, 2.0, -v27
	v_fma_f16 v12, v12, 2.0, -v16
	s_movk_i32 s7, 0x3b64
	v_fma_f16 v24, v13, s6, v18
	v_fma_f16 v41, v12, s7, v24
	;; [unrolled: 1-line block ×4, first 2 shown]
	v_fma_f16 v25, v6, 2.0, -v26
	v_fma_f16 v6, v11, s3, v19
	v_fma_f16 v45, v28, s7, v6
	;; [unrolled: 1-line block ×10, first 2 shown]
	s_load_dwordx2 s[0:1], s[4:5], 0x8
	v_pk_add_f16 v3, v1, v3 neg_lo:[0,1] neg_hi:[0,1]
	v_pk_add_f16 v4, v2, v4 neg_lo:[0,1] neg_hi:[0,1]
	v_fma_f16 v29, v27, 2.0, -v46
	v_sub_f16_sdwa v27, v3, v4 dst_sel:DWORD dst_unused:UNUSED_PAD src0_sel:DWORD src1_sel:WORD_1
	v_fma_f16 v6, v10, s7, v20
	v_pk_fma_f16 v1, v1, 2.0, v3 op_sel_hi:[1,0,1] neg_lo:[0,0,1] neg_hi:[0,0,1]
	v_pk_fma_f16 v2, v2, 2.0, v4 op_sel_hi:[1,0,1] neg_lo:[0,0,1] neg_hi:[0,0,1]
	v_fma_f16 v33, v32, 2.0, -v30
	v_fma_f16 v32, v3, 2.0, -v27
	v_lshrrev_b32_e32 v3, 16, v3
	v_fma_f16 v48, v16, s3, v6
	v_fma_f16 v44, v17, 2.0, -v36
	v_add_f16_e32 v53, v4, v3
	v_pk_add_f16 v17, v1, v2 neg_lo:[0,1] neg_hi:[0,1]
	v_fma_f16 v24, v14, 2.0, -v23
	v_fma_f16 v28, v9, 2.0, -v31
	v_fma_f16 v43, v5, 2.0, -v37
	v_fma_f16 v42, v18, 2.0, -v41
	v_fma_f16 v52, v3, 2.0, -v53
	v_fma_f16 v51, v19, 2.0, -v45
	v_fma_f16 v50, v7, 2.0, -v47
	v_fma_f16 v49, v20, 2.0, -v48
	v_fma_f16 v35, v15, 2.0, -v22
	v_lshlrev_b32_e32 v40, 6, v0
	v_pk_fma_f16 v13, v1, 2.0, v17 op_sel_hi:[1,0,1] neg_lo:[0,0,1] neg_hi:[0,0,1]
	s_waitcnt lgkmcnt(0)
	s_barrier
	s_and_saveexec_b64 s[2:3], vcc
	s_cbranch_execz .LBB0_7
; %bb.6:
	s_mov_b32 s6, 0x5040100
	v_perm_b32 v4, v49, v29, s6
	v_perm_b32 v3, v50, v28, s6
	;; [unrolled: 1-line block ×4, first 2 shown]
	ds_write_b128 v40, v[1:4] offset:16
	v_perm_b32 v4, v48, v46, s6
	v_perm_b32 v3, v47, v31, s6
	;; [unrolled: 1-line block ×10, first 2 shown]
	ds_write_b128 v40, v[1:4] offset:48
	ds_write_b128 v40, v[13:16]
	ds_write_b128 v40, v[17:20] offset:32
.LBB0_7:
	s_or_b64 exec, exec, s[2:3]
	s_load_dwordx2 s[2:3], s[4:5], 0x20
	s_waitcnt lgkmcnt(0)
	s_barrier
	s_and_saveexec_b64 s[4:5], vcc
	s_cbranch_execz .LBB0_9
; %bb.8:
	v_add_u32_e32 v1, 0x200, v38
	ds_read2_b32 v[24:25], v1 offset0:64 offset1:160
	v_add_u32_e32 v1, 0x400, v38
	ds_read2_b32 v[32:33], v1 offset0:128 offset1:224
	v_add_u32_e32 v1, 0x800, v38
	ds_read2_b32 v[28:29], v1 offset0:64 offset1:160
	v_add_u32_e32 v1, 0xc00, v38
	ds_read2_b32 v[22:23], v1 offset0:96 offset1:192
	v_add_u32_e32 v1, 0x1000, v38
	ds_read2_b32 v[26:27], v1 offset0:32 offset1:128
	v_add_u32_e32 v1, 0x1200, v38
	ds_read2_b32 v[34:35], v38 offset1:96
	ds_read2_b32 v[30:31], v1 offset0:96 offset1:192
	ds_read_b32 v17, v38 offset:3072
	ds_read_b32 v46, v38 offset:5760
	s_waitcnt lgkmcnt(8)
	v_lshrrev_b32_e32 v43, 16, v24
	v_lshrrev_b32_e32 v42, 16, v25
	s_waitcnt lgkmcnt(7)
	v_lshrrev_b32_e32 v52, 16, v32
	s_waitcnt lgkmcnt(3)
	v_lshrrev_b32_e32 v44, 16, v35
	v_lshrrev_b32_e32 v51, 16, v33
	;; [unrolled: 1-line block ×8, first 2 shown]
	s_waitcnt lgkmcnt(2)
	v_lshrrev_b32_e32 v45, 16, v30
	v_lshrrev_b32_e32 v47, 16, v31
	s_waitcnt lgkmcnt(0)
	v_lshrrev_b32_e32 v48, 16, v46
	v_mov_b32_e32 v13, v34
.LBB0_9:
	s_or_b64 exec, exec, s[4:5]
	v_and_b32_e32 v39, 15, v0
	v_mad_u64_u32 v[14:15], s[4:5], v39, 60, s[0:1]
	s_mov_b32 s4, 0xb9a8
	s_movk_i32 s5, 0x39a8
	global_load_dwordx4 v[1:4], v[14:15], off
	global_load_dwordx4 v[5:8], v[14:15], off offset:16
	global_load_dwordx4 v[9:12], v[14:15], off offset:32
	global_load_dwordx3 v[18:20], v[14:15], off offset:48
	v_lshrrev_b32_e32 v14, 16, v17
	v_lshrrev_b32_e32 v15, 16, v13
	s_mov_b32 s6, 0xbb64
	s_movk_i32 s8, 0x361f
	s_mov_b32 s7, 0xb61f
	s_movk_i32 s9, 0x3b64
	s_waitcnt vmcnt(0)
	s_barrier
	v_mul_f16_sdwa v16, v44, v1 dst_sel:DWORD dst_unused:UNUSED_PAD src0_sel:DWORD src1_sel:WORD_1
	v_mul_f16_sdwa v54, v43, v2 dst_sel:DWORD dst_unused:UNUSED_PAD src0_sel:DWORD src1_sel:WORD_1
	;; [unrolled: 1-line block ×10, first 2 shown]
	v_fma_f16 v16, v35, v1, -v16
	v_mul_f16_sdwa v35, v45, v18 dst_sel:DWORD dst_unused:UNUSED_PAD src0_sel:DWORD src1_sel:WORD_1
	v_mul_f16_sdwa v76, v30, v18 dst_sel:DWORD dst_unused:UNUSED_PAD src0_sel:DWORD src1_sel:WORD_1
	v_fma_f16 v24, v24, v2, -v54
	v_fma_f16 v25, v25, v3, -v56
	v_mul_f16_sdwa v54, v47, v19 dst_sel:DWORD dst_unused:UNUSED_PAD src0_sel:DWORD src1_sel:WORD_1
	v_mul_f16_sdwa v56, v31, v19 dst_sel:DWORD dst_unused:UNUSED_PAD src0_sel:DWORD src1_sel:WORD_1
	v_mul_f16_sdwa v58, v52, v4 dst_sel:DWORD dst_unused:UNUSED_PAD src0_sel:DWORD src1_sel:WORD_1
	v_mul_f16_sdwa v59, v32, v4 dst_sel:DWORD dst_unused:UNUSED_PAD src0_sel:DWORD src1_sel:WORD_1
	v_mul_f16_sdwa v67, v17, v8 dst_sel:DWORD dst_unused:UNUSED_PAD src0_sel:DWORD src1_sel:WORD_1
	v_mul_f16_sdwa v74, v53, v12 dst_sel:DWORD dst_unused:UNUSED_PAD src0_sel:DWORD src1_sel:WORD_1
	v_mul_f16_sdwa v75, v27, v12 dst_sel:DWORD dst_unused:UNUSED_PAD src0_sel:DWORD src1_sel:WORD_1
	v_fma_f16 v43, v43, v2, v55
	v_fma_f16 v28, v28, v6, -v62
	v_fma_f16 v50, v50, v6, v63
	v_fma_f16 v23, v23, v10, -v70
	;; [unrolled: 2-line block ×4, first 2 shown]
	v_fma_f16 v45, v47, v19, v56
	v_mul_f16_sdwa v60, v51, v5 dst_sel:DWORD dst_unused:UNUSED_PAD src0_sel:DWORD src1_sel:WORD_1
	v_mul_f16_sdwa v66, v14, v8 dst_sel:DWORD dst_unused:UNUSED_PAD src0_sel:DWORD src1_sel:WORD_1
	;; [unrolled: 1-line block ×3, first 2 shown]
	v_fma_f16 v32, v32, v4, -v58
	v_fma_f16 v52, v52, v4, v59
	v_fma_f16 v14, v14, v8, v67
	v_fma_f16 v27, v27, v12, -v74
	v_fma_f16 v53, v53, v12, v75
	v_sub_f16_e32 v23, v24, v23
	v_sub_f16_e32 v37, v43, v37
	;; [unrolled: 1-line block ×4, first 2 shown]
	v_mul_f16_sdwa v61, v33, v5 dst_sel:DWORD dst_unused:UNUSED_PAD src0_sel:DWORD src1_sel:WORD_1
	v_mul_f16_sdwa v69, v22, v9 dst_sel:DWORD dst_unused:UNUSED_PAD src0_sel:DWORD src1_sel:WORD_1
	v_fma_f16 v34, v44, v1, v34
	v_mul_f16_sdwa v44, v48, v20 dst_sel:DWORD dst_unused:UNUSED_PAD src0_sel:DWORD src1_sel:WORD_1
	v_mul_f16_sdwa v55, v46, v20 dst_sel:DWORD dst_unused:UNUSED_PAD src0_sel:DWORD src1_sel:WORD_1
	v_fma_f16 v33, v33, v5, -v60
	v_fma_f16 v17, v17, v8, -v66
	;; [unrolled: 1-line block ×3, first 2 shown]
	v_sub_f16_e32 v14, v15, v14
	v_sub_f16_e32 v27, v32, v27
	v_sub_f16_e32 v47, v52, v53
	v_fma_f16 v24, v24, 2.0, -v23
	v_fma_f16 v43, v43, 2.0, -v37
	;; [unrolled: 1-line block ×4, first 2 shown]
	v_mul_f16_sdwa v64, v49, v7 dst_sel:DWORD dst_unused:UNUSED_PAD src0_sel:DWORD src1_sel:WORD_1
	v_mul_f16_sdwa v72, v41, v11 dst_sel:DWORD dst_unused:UNUSED_PAD src0_sel:DWORD src1_sel:WORD_1
	v_fma_f16 v51, v51, v5, v61
	v_fma_f16 v36, v36, v9, v69
	v_fma_f16 v44, v46, v20, -v44
	v_fma_f16 v46, v48, v20, v55
	v_sub_f16_e32 v17, v13, v17
	v_sub_f16_e32 v22, v16, v22
	v_fma_f16 v15, v15, 2.0, -v14
	v_fma_f16 v32, v32, 2.0, -v27
	;; [unrolled: 1-line block ×3, first 2 shown]
	v_sub_f16_e32 v30, v33, v30
	v_add_f16_e32 v27, v14, v27
	v_sub_f16_e32 v28, v24, v28
	v_sub_f16_e32 v50, v43, v50
	v_mul_f16_sdwa v65, v29, v7 dst_sel:DWORD dst_unused:UNUSED_PAD src0_sel:DWORD src1_sel:WORD_1
	v_mul_f16_sdwa v73, v26, v11 dst_sel:DWORD dst_unused:UNUSED_PAD src0_sel:DWORD src1_sel:WORD_1
	v_fma_f16 v29, v29, v7, -v64
	v_fma_f16 v26, v26, v11, -v72
	v_sub_f16_e32 v36, v34, v36
	v_fma_f16 v13, v13, 2.0, -v17
	v_fma_f16 v16, v16, 2.0, -v22
	v_sub_f16_e32 v35, v51, v35
	v_fma_f16 v33, v33, 2.0, -v30
	v_sub_f16_e32 v48, v15, v48
	v_sub_f16_e32 v47, v17, v47
	v_fma_f16 v53, v14, 2.0, -v27
	v_fma_f16 v14, v24, 2.0, -v28
	;; [unrolled: 1-line block ×3, first 2 shown]
	v_sub_f16_e32 v43, v23, v45
	v_fma_f16 v42, v42, v3, v57
	v_fma_f16 v49, v49, v7, v65
	;; [unrolled: 1-line block ×3, first 2 shown]
	v_fma_f16 v34, v34, 2.0, -v36
	v_fma_f16 v51, v51, 2.0, -v35
	v_sub_f16_e32 v26, v25, v26
	v_sub_f16_e32 v44, v29, v44
	;; [unrolled: 1-line block ×3, first 2 shown]
	v_fma_f16 v32, v15, 2.0, -v48
	v_fma_f16 v17, v17, 2.0, -v47
	v_add_f16_e32 v31, v37, v31
	v_fma_f16 v23, v23, 2.0, -v43
	v_sub_f16_e32 v45, v16, v33
	v_sub_f16_e32 v41, v42, v41
	v_fma_f16 v25, v25, 2.0, -v26
	v_sub_f16_e32 v46, v49, v46
	v_fma_f16 v29, v29, 2.0, -v44
	v_fma_f16 v13, v13, 2.0, -v52
	;; [unrolled: 1-line block ×3, first 2 shown]
	v_sub_f16_e32 v51, v34, v51
	v_fma_f16 v54, v16, 2.0, -v45
	v_sub_f16_e32 v16, v32, v24
	v_fma_f16 v24, v23, s4, v17
	v_fma_f16 v42, v42, 2.0, -v41
	v_fma_f16 v49, v49, 2.0, -v46
	;; [unrolled: 1-line block ×3, first 2 shown]
	v_sub_f16_e32 v56, v22, v35
	v_add_f16_e32 v30, v36, v30
	v_sub_f16_e32 v29, v25, v29
	v_sub_f16_e32 v46, v26, v46
	v_add_f16_e32 v44, v41, v44
	v_sub_f16_e32 v15, v13, v14
	v_fma_f16 v14, v32, 2.0, -v16
	v_fma_f16 v32, v37, s4, v53
	v_fma_f16 v34, v37, s4, v24
	;; [unrolled: 1-line block ×3, first 2 shown]
	v_fma_f16 v22, v22, 2.0, -v56
	v_fma_f16 v57, v36, 2.0, -v30
	v_sub_f16_e32 v49, v42, v49
	v_fma_f16 v25, v25, 2.0, -v29
	v_fma_f16 v26, v26, 2.0, -v46
	;; [unrolled: 1-line block ×3, first 2 shown]
	v_fma_f16 v35, v23, s5, v32
	v_fma_f16 v32, v17, 2.0, -v34
	v_sub_f16_e32 v17, v52, v50
	v_fma_f16 v23, v43, s5, v47
	v_fma_f16 v59, v43, s5, v24
	v_fma_f16 v42, v42, 2.0, -v49
	v_fma_f16 v33, v53, 2.0, -v35
	;; [unrolled: 1-line block ×3, first 2 shown]
	v_fma_f16 v53, v31, s4, v23
	v_fma_f16 v52, v27, 2.0, -v59
	v_sub_f16_e32 v27, v54, v25
	v_fma_f16 v25, v26, s4, v22
	v_fma_f16 v31, v58, s4, v57
	v_add_f16_e32 v50, v48, v28
	v_fma_f16 v41, v47, 2.0, -v53
	v_sub_f16_e32 v28, v55, v42
	v_fma_f16 v47, v58, s4, v25
	v_fma_f16 v26, v26, s5, v31
	v_fma_f16 v23, v54, 2.0, -v27
	v_fma_f16 v24, v55, 2.0, -v28
	;; [unrolled: 1-line block ×4, first 2 shown]
	v_sub_f16_e32 v54, v45, v49
	v_add_f16_e32 v55, v51, v29
	v_fma_f16 v22, v46, s5, v56
	v_fma_f16 v42, v44, s5, v30
	v_fma_f16 v13, v13, 2.0, -v15
	v_fma_f16 v37, v48, 2.0, -v50
	;; [unrolled: 1-line block ×4, first 2 shown]
	v_fma_f16 v57, v44, s4, v22
	v_fma_f16 v58, v46, s5, v42
	v_sub_f16_e32 v42, v14, v24
	v_fma_f16 v24, v31, s6, v33
	v_fma_f16 v44, v56, 2.0, -v57
	v_fma_f16 v30, v30, 2.0, -v58
	v_sub_f16_e32 v22, v13, v23
	v_fma_f16 v23, v25, s6, v32
	v_fma_f16 v43, v25, s8, v24
	;; [unrolled: 1-line block ×7, first 2 shown]
	v_add_f16_e32 v49, v16, v27
	v_fma_f16 v27, v47, s8, v34
	v_fma_f16 v25, v30, s6, v25
	;; [unrolled: 1-line block ×10, first 2 shown]
	v_fma_f16 v26, v17, 2.0, -v30
	v_fma_f16 v17, v57, s9, v53
	v_fma_f16 v27, v58, s9, v59
	;; [unrolled: 1-line block ×4, first 2 shown]
	v_fma_f16 v45, v50, 2.0, -v51
	v_fma_f16 v31, v58, s7, v17
	v_fma_f16 v50, v57, s8, v27
	v_sub_f16_e32 v28, v15, v28
	v_fma_f16 v27, v53, 2.0, -v31
	v_fma_f16 v47, v59, 2.0, -v50
	v_lshlrev_b32_e32 v17, 4, v0
	s_and_saveexec_b64 s[4:5], vcc
	s_cbranch_execz .LBB0_11
; %bb.10:
	s_movk_i32 s6, 0x700
	v_fma_f16 v32, v32, 2.0, -v23
	v_fma_f16 v33, v33, 2.0, -v43
	v_fma_f16 v13, v13, 2.0, -v22
	v_fma_f16 v14, v14, 2.0, -v42
	v_and_or_b32 v53, v17, s6, v39
	v_fma_f16 v41, v41, 2.0, -v25
	v_fma_f16 v52, v52, 2.0, -v44
	;; [unrolled: 1-line block ×4, first 2 shown]
	v_lshlrev_b32_e32 v53, 2, v53
	v_pack_b32_f16 v13, v13, v14
	v_pack_b32_f16 v14, v32, v33
	v_fma_f16 v34, v34, 2.0, -v29
	v_fma_f16 v35, v35, 2.0, -v48
	;; [unrolled: 1-line block ×4, first 2 shown]
	ds_write2_b32 v53, v13, v14 offset1:16
	v_pack_b32_f16 v13, v36, v37
	v_pack_b32_f16 v14, v41, v52
	ds_write2_b32 v53, v13, v14 offset0:32 offset1:48
	v_pack_b32_f16 v13, v15, v16
	v_pack_b32_f16 v14, v34, v35
	s_mov_b32 s6, 0x5040100
	ds_write2_b32 v53, v13, v14 offset0:64 offset1:80
	v_perm_b32 v13, v45, v26, s6
	v_perm_b32 v14, v47, v27, s6
	ds_write2_b32 v53, v13, v14 offset0:96 offset1:112
	v_perm_b32 v13, v42, v22, s6
	v_perm_b32 v14, v43, v23, s6
	;; [unrolled: 3-line block ×5, first 2 shown]
	ds_write2_b32 v53, v13, v14 offset0:224 offset1:240
.LBB0_11:
	s_or_b64 exec, exec, s[4:5]
	v_mad_u64_u32 v[32:33], s[0:1], v0, 20, s[0:1]
	s_load_dwordx4 s[8:11], s[2:3], 0x0
	s_waitcnt lgkmcnt(0)
	s_barrier
	global_load_dwordx4 v[13:16], v[32:33], off offset:960
	global_load_dword v41, v[32:33], off offset:976
	ds_read2st64_b32 v[32:33], v38 offset1:4
	ds_read2st64_b32 v[34:35], v38 offset0:8 offset1:12
	ds_read2st64_b32 v[36:37], v38 offset0:16 offset1:20
	s_movk_i32 s0, 0x3aee
	s_mov_b32 s1, 0xbaee
	s_waitcnt lgkmcnt(2)
	v_lshrrev_b32_e32 v53, 16, v33
	s_waitcnt lgkmcnt(1)
	v_lshrrev_b32_e32 v54, 16, v34
	v_lshrrev_b32_e32 v55, 16, v35
	s_waitcnt lgkmcnt(0)
	v_lshrrev_b32_e32 v56, 16, v36
	v_lshrrev_b32_e32 v57, 16, v37
	v_lshrrev_b32_e32 v52, 16, v32
	s_waitcnt vmcnt(1)
	v_mul_f16_sdwa v59, v33, v13 dst_sel:DWORD dst_unused:UNUSED_PAD src0_sel:DWORD src1_sel:WORD_1
	v_mul_f16_sdwa v60, v54, v14 dst_sel:DWORD dst_unused:UNUSED_PAD src0_sel:DWORD src1_sel:WORD_1
	;; [unrolled: 1-line block ×7, first 2 shown]
	s_waitcnt vmcnt(0)
	v_mul_f16_sdwa v66, v57, v41 dst_sel:DWORD dst_unused:UNUSED_PAD src0_sel:DWORD src1_sel:WORD_1
	v_mul_f16_sdwa v67, v37, v41 dst_sel:DWORD dst_unused:UNUSED_PAD src0_sel:DWORD src1_sel:WORD_1
	;; [unrolled: 1-line block ×3, first 2 shown]
	v_fma_f16 v53, v53, v13, v59
	v_fma_f16 v34, v34, v14, -v60
	v_fma_f16 v54, v54, v14, v61
	v_fma_f16 v35, v35, v15, -v62
	;; [unrolled: 2-line block ×5, first 2 shown]
	v_add_f16_e32 v59, v34, v36
	v_sub_f16_e32 v60, v54, v56
	v_add_f16_e32 v61, v52, v54
	v_add_f16_e32 v54, v54, v56
	;; [unrolled: 1-line block ×3, first 2 shown]
	v_sub_f16_e32 v64, v55, v57
	v_add_f16_e32 v65, v53, v55
	v_add_f16_e32 v55, v55, v57
	;; [unrolled: 1-line block ×3, first 2 shown]
	v_sub_f16_e32 v34, v34, v36
	v_add_f16_e32 v62, v33, v35
	v_sub_f16_e32 v35, v35, v37
	v_fma_f16 v32, v59, -0.5, v32
	v_fma_f16 v52, v54, -0.5, v52
	;; [unrolled: 1-line block ×4, first 2 shown]
	v_add_f16_e32 v36, v58, v36
	v_add_f16_e32 v56, v61, v56
	;; [unrolled: 1-line block ×4, first 2 shown]
	v_fma_f16 v57, v60, s0, v32
	v_fma_f16 v58, v60, s1, v32
	v_fma_f16 v59, v34, s1, v52
	v_fma_f16 v60, v34, s0, v52
	v_fma_f16 v34, v64, s0, v33
	v_fma_f16 v33, v64, s1, v33
	v_fma_f16 v55, v35, s1, v53
	v_fma_f16 v61, v35, s0, v53
	v_add_f16_e32 v32, v36, v37
	v_add_f16_e32 v53, v56, v54
	v_sub_f16_e32 v35, v36, v37
	v_sub_f16_e32 v52, v56, v54
	v_mul_f16_e32 v36, 0x3aee, v55
	v_mul_f16_e32 v37, -0.5, v33
	v_mul_f16_e32 v54, 0xbaee, v34
	v_mul_f16_e32 v56, -0.5, v61
	v_fma_f16 v36, v34, 0.5, v36
	v_fma_f16 v37, v61, s0, v37
	v_fma_f16 v61, v55, 0.5, v54
	v_fma_f16 v56, v33, s1, v56
	v_add_f16_e32 v33, v57, v36
	v_add_f16_e32 v54, v59, v61
	v_pack_b32_f16 v62, v32, v53
	v_add_f16_e32 v34, v58, v37
	v_add_f16_e32 v55, v60, v56
	v_sub_f16_e32 v36, v57, v36
	v_sub_f16_e32 v37, v58, v37
	;; [unrolled: 1-line block ×4, first 2 shown]
	v_pack_b32_f16 v58, v33, v54
	v_pack_b32_f16 v63, v35, v52
	;; [unrolled: 1-line block ×4, first 2 shown]
	ds_write2st64_b32 v38, v62, v58 offset1:4
	ds_write2st64_b32 v38, v59, v63 offset0:8 offset1:12
	v_pack_b32_f16 v58, v37, v56
	ds_write2st64_b32 v38, v60, v58 offset0:16 offset1:20
	s_waitcnt lgkmcnt(0)
	s_barrier
	s_and_saveexec_b64 s[2:3], vcc
	s_cbranch_execz .LBB0_13
; %bb.12:
	s_add_u32 s4, s12, 0x1800
	s_addc_u32 s5, s13, 0
	global_load_dword v63, v38, s[4:5]
	ds_read2_b32 v[58:59], v38 offset1:96
	v_add_co_u32_e64 v61, s[0:1], s4, v38
	v_mov_b32_e32 v62, s5
	v_addc_co_u32_e64 v62, s[0:1], 0, v62, s[0:1]
	s_waitcnt lgkmcnt(0)
	v_lshrrev_b32_e32 v60, 16, v58
	s_movk_i32 s0, 0x1000
	s_waitcnt vmcnt(0)
	v_mul_f16_sdwa v64, v60, v63 dst_sel:DWORD dst_unused:UNUSED_PAD src0_sel:DWORD src1_sel:WORD_1
	v_fma_f16 v64, v58, v63, -v64
	v_mul_f16_sdwa v58, v58, v63 dst_sel:DWORD dst_unused:UNUSED_PAD src0_sel:DWORD src1_sel:WORD_1
	v_fma_f16 v58, v60, v63, v58
	global_load_dword v63, v38, s[4:5] offset:384
	v_lshrrev_b32_e32 v60, 16, v59
	v_pack_b32_f16 v58, v64, v58
	s_waitcnt vmcnt(0)
	v_mul_f16_sdwa v64, v60, v63 dst_sel:DWORD dst_unused:UNUSED_PAD src0_sel:DWORD src1_sel:WORD_1
	v_fma_f16 v64, v59, v63, -v64
	v_mul_f16_sdwa v59, v59, v63 dst_sel:DWORD dst_unused:UNUSED_PAD src0_sel:DWORD src1_sel:WORD_1
	v_fma_f16 v59, v60, v63, v59
	v_pack_b32_f16 v59, v64, v59
	global_load_dword v64, v38, s[4:5] offset:768
	v_add_u32_e32 v60, 0x200, v38
	ds_write2_b32 v38, v58, v59 offset1:96
	ds_read2_b32 v[58:59], v60 offset0:64 offset1:160
	s_waitcnt lgkmcnt(0)
	v_lshrrev_b32_e32 v63, 16, v58
	s_waitcnt vmcnt(0)
	v_mul_f16_sdwa v65, v63, v64 dst_sel:DWORD dst_unused:UNUSED_PAD src0_sel:DWORD src1_sel:WORD_1
	v_fma_f16 v65, v58, v64, -v65
	v_mul_f16_sdwa v58, v58, v64 dst_sel:DWORD dst_unused:UNUSED_PAD src0_sel:DWORD src1_sel:WORD_1
	v_fma_f16 v58, v63, v64, v58
	global_load_dword v64, v38, s[4:5] offset:1152
	v_lshrrev_b32_e32 v63, 16, v59
	v_pack_b32_f16 v58, v65, v58
	s_waitcnt vmcnt(0)
	v_mul_f16_sdwa v65, v63, v64 dst_sel:DWORD dst_unused:UNUSED_PAD src0_sel:DWORD src1_sel:WORD_1
	v_fma_f16 v65, v59, v64, -v65
	v_mul_f16_sdwa v59, v59, v64 dst_sel:DWORD dst_unused:UNUSED_PAD src0_sel:DWORD src1_sel:WORD_1
	v_fma_f16 v59, v63, v64, v59
	global_load_dword v64, v38, s[4:5] offset:1536
	v_pack_b32_f16 v59, v65, v59
	ds_write2_b32 v60, v58, v59 offset0:64 offset1:160
	v_add_u32_e32 v60, 0x400, v38
	ds_read2_b32 v[58:59], v60 offset0:128 offset1:224
	s_waitcnt lgkmcnt(0)
	v_lshrrev_b32_e32 v63, 16, v58
	s_waitcnt vmcnt(0)
	v_mul_f16_sdwa v65, v63, v64 dst_sel:DWORD dst_unused:UNUSED_PAD src0_sel:DWORD src1_sel:WORD_1
	v_fma_f16 v65, v58, v64, -v65
	v_mul_f16_sdwa v58, v58, v64 dst_sel:DWORD dst_unused:UNUSED_PAD src0_sel:DWORD src1_sel:WORD_1
	v_fma_f16 v58, v63, v64, v58
	global_load_dword v64, v38, s[4:5] offset:1920
	v_lshrrev_b32_e32 v63, 16, v59
	v_pack_b32_f16 v58, v65, v58
	s_waitcnt vmcnt(0)
	v_mul_f16_sdwa v65, v63, v64 dst_sel:DWORD dst_unused:UNUSED_PAD src0_sel:DWORD src1_sel:WORD_1
	v_fma_f16 v65, v59, v64, -v65
	v_mul_f16_sdwa v59, v59, v64 dst_sel:DWORD dst_unused:UNUSED_PAD src0_sel:DWORD src1_sel:WORD_1
	v_fma_f16 v59, v63, v64, v59
	global_load_dword v64, v38, s[4:5] offset:2304
	v_pack_b32_f16 v59, v65, v59
	ds_write2_b32 v60, v58, v59 offset0:128 offset1:224
	v_add_u32_e32 v60, 0x800, v38
	;; [unrolled: 20-line block ×3, first 2 shown]
	ds_read2_b32 v[58:59], v60 offset1:96
	s_waitcnt lgkmcnt(0)
	v_lshrrev_b32_e32 v63, 16, v58
	s_waitcnt vmcnt(0)
	v_mul_f16_sdwa v65, v63, v64 dst_sel:DWORD dst_unused:UNUSED_PAD src0_sel:DWORD src1_sel:WORD_1
	v_fma_f16 v65, v58, v64, -v65
	v_mul_f16_sdwa v58, v58, v64 dst_sel:DWORD dst_unused:UNUSED_PAD src0_sel:DWORD src1_sel:WORD_1
	v_fma_f16 v58, v63, v64, v58
	global_load_dword v64, v38, s[4:5] offset:3456
	v_lshrrev_b32_e32 v63, 16, v59
	v_pack_b32_f16 v58, v65, v58
	s_waitcnt vmcnt(0)
	v_mul_f16_sdwa v65, v63, v64 dst_sel:DWORD dst_unused:UNUSED_PAD src0_sel:DWORD src1_sel:WORD_1
	v_fma_f16 v65, v59, v64, -v65
	v_mul_f16_sdwa v59, v59, v64 dst_sel:DWORD dst_unused:UNUSED_PAD src0_sel:DWORD src1_sel:WORD_1
	v_fma_f16 v59, v63, v64, v59
	global_load_dword v64, v38, s[4:5] offset:3840
	v_pack_b32_f16 v59, v65, v59
	v_add_u32_e32 v63, 0xe00, v38
	ds_write2_b32 v60, v58, v59 offset1:96
	ds_read2_b32 v[58:59], v63 offset0:64 offset1:160
	s_waitcnt lgkmcnt(0)
	v_lshrrev_b32_e32 v60, 16, v58
	s_waitcnt vmcnt(0)
	v_mul_f16_sdwa v65, v60, v64 dst_sel:DWORD dst_unused:UNUSED_PAD src0_sel:DWORD src1_sel:WORD_1
	v_fma_f16 v65, v58, v64, -v65
	v_mul_f16_sdwa v58, v58, v64 dst_sel:DWORD dst_unused:UNUSED_PAD src0_sel:DWORD src1_sel:WORD_1
	v_fma_f16 v58, v60, v64, v58
	v_add_co_u32_e64 v60, s[0:1], s0, v61
	v_addc_co_u32_e64 v61, s[0:1], 0, v62, s[0:1]
	global_load_dword v62, v[60:61], off offset:128
	v_lshrrev_b32_e32 v64, 16, v59
	v_pack_b32_f16 v58, v65, v58
	s_waitcnt vmcnt(0)
	v_mul_f16_sdwa v65, v64, v62 dst_sel:DWORD dst_unused:UNUSED_PAD src0_sel:DWORD src1_sel:WORD_1
	v_fma_f16 v65, v59, v62, -v65
	v_mul_f16_sdwa v59, v59, v62 dst_sel:DWORD dst_unused:UNUSED_PAD src0_sel:DWORD src1_sel:WORD_1
	v_fma_f16 v59, v64, v62, v59
	v_or_b32_e32 v64, 0x1200, v38
	global_load_dword v64, v64, s[4:5]
	v_pack_b32_f16 v59, v65, v59
	v_add_u32_e32 v62, 0x1000, v38
	ds_write2_b32 v63, v58, v59 offset0:64 offset1:160
	ds_read2_b32 v[58:59], v62 offset0:128 offset1:224
	s_waitcnt lgkmcnt(0)
	v_lshrrev_b32_e32 v63, 16, v58
	s_waitcnt vmcnt(0)
	v_mul_f16_sdwa v65, v63, v64 dst_sel:DWORD dst_unused:UNUSED_PAD src0_sel:DWORD src1_sel:WORD_1
	v_fma_f16 v65, v58, v64, -v65
	v_mul_f16_sdwa v58, v58, v64 dst_sel:DWORD dst_unused:UNUSED_PAD src0_sel:DWORD src1_sel:WORD_1
	v_fma_f16 v58, v63, v64, v58
	global_load_dword v64, v[60:61], off offset:896
	v_lshrrev_b32_e32 v63, 16, v59
	v_pack_b32_f16 v58, v65, v58
	s_waitcnt vmcnt(0)
	v_mul_f16_sdwa v65, v63, v64 dst_sel:DWORD dst_unused:UNUSED_PAD src0_sel:DWORD src1_sel:WORD_1
	v_fma_f16 v65, v59, v64, -v65
	v_mul_f16_sdwa v59, v59, v64 dst_sel:DWORD dst_unused:UNUSED_PAD src0_sel:DWORD src1_sel:WORD_1
	v_fma_f16 v59, v63, v64, v59
	global_load_dword v64, v[60:61], off offset:1280
	v_pack_b32_f16 v59, v65, v59
	global_load_dword v60, v[60:61], off offset:1664
	ds_write2_b32 v62, v58, v59 offset0:128 offset1:224
	v_add_u32_e32 v62, 0x1400, v38
	ds_read2_b32 v[58:59], v62 offset0:64 offset1:160
	s_waitcnt lgkmcnt(0)
	v_lshrrev_b32_e32 v63, 16, v58
	s_waitcnt vmcnt(1)
	v_mul_f16_sdwa v65, v63, v64 dst_sel:DWORD dst_unused:UNUSED_PAD src0_sel:DWORD src1_sel:WORD_1
	v_fma_f16 v65, v58, v64, -v65
	v_mul_f16_sdwa v58, v58, v64 dst_sel:DWORD dst_unused:UNUSED_PAD src0_sel:DWORD src1_sel:WORD_1
	v_fma_f16 v58, v63, v64, v58
	v_lshrrev_b32_e32 v63, 16, v59
	s_waitcnt vmcnt(0)
	v_mul_f16_sdwa v61, v63, v60 dst_sel:DWORD dst_unused:UNUSED_PAD src0_sel:DWORD src1_sel:WORD_1
	v_fma_f16 v61, v59, v60, -v61
	v_mul_f16_sdwa v59, v59, v60 dst_sel:DWORD dst_unused:UNUSED_PAD src0_sel:DWORD src1_sel:WORD_1
	v_fma_f16 v59, v63, v60, v59
	v_pack_b32_f16 v58, v65, v58
	v_pack_b32_f16 v59, v61, v59
	ds_write2_b32 v62, v58, v59 offset0:64 offset1:160
.LBB0_13:
	s_or_b64 exec, exec, s[2:3]
	s_waitcnt lgkmcnt(0)
	s_barrier
	s_and_saveexec_b64 s[0:1], vcc
	s_cbranch_execz .LBB0_15
; %bb.14:
	v_add_u32_e32 v22, 0x200, v38
	ds_read2_b32 v[34:35], v22 offset0:64 offset1:160
	v_add_u32_e32 v22, 0x400, v38
	ds_read2_b32 v[36:37], v22 offset0:128 offset1:224
	;; [unrolled: 2-line block ×3, first 2 shown]
	v_add_u32_e32 v22, 0xc00, v38
	v_add_u32_e32 v24, 0xe00, v38
	;; [unrolled: 1-line block ×4, first 2 shown]
	ds_read2_b32 v[32:33], v38 offset1:96
	ds_read2_b32 v[22:23], v22 offset1:96
	ds_read2_b32 v[24:25], v24 offset0:64 offset1:160
	ds_read2_b32 v[28:29], v28 offset0:128 offset1:224
	;; [unrolled: 1-line block ×3, first 2 shown]
	s_waitcnt lgkmcnt(4)
	v_lshrrev_b32_e32 v53, 16, v32
	v_lshrrev_b32_e32 v54, 16, v33
	;; [unrolled: 1-line block ×8, first 2 shown]
	s_waitcnt lgkmcnt(3)
	v_lshrrev_b32_e32 v42, 16, v22
	v_lshrrev_b32_e32 v43, 16, v23
	s_waitcnt lgkmcnt(2)
	v_lshrrev_b32_e32 v46, 16, v24
	v_lshrrev_b32_e32 v44, 16, v25
	;; [unrolled: 3-line block ×4, first 2 shown]
.LBB0_15:
	s_or_b64 exec, exec, s[0:1]
	v_sub_f16_e32 v42, v53, v42
	v_sub_f16_e32 v49, v57, v49
	;; [unrolled: 1-line block ×5, first 2 shown]
	v_fma_f16 v53, v53, 2.0, -v42
	v_fma_f16 v57, v57, 2.0, -v49
	v_sub_f16_e32 v24, v34, v24
	v_fma_f16 v55, v55, 2.0, -v46
	v_fma_f16 v45, v45, 2.0, -v51
	v_sub_f16_e32 v28, v36, v28
	v_sub_f16_e32 v30, v26, v30
	;; [unrolled: 1-line block ×3, first 2 shown]
	v_add_f16_e32 v49, v49, v22
	v_sub_f16_e32 v45, v55, v45
	v_add_f16_e32 v51, v51, v24
	v_fma_f16 v32, v32, 2.0, -v22
	v_fma_f16 v36, v36, 2.0, -v28
	;; [unrolled: 1-line block ×4, first 2 shown]
	v_sub_f16_e32 v23, v33, v23
	v_sub_f16_e32 v29, v37, v29
	;; [unrolled: 1-line block ×4, first 2 shown]
	v_fma_f16 v53, v53, 2.0, -v57
	v_sub_f16_e32 v28, v42, v28
	v_fma_f16 v22, v22, 2.0, -v49
	v_fma_f16 v55, v55, 2.0, -v45
	v_sub_f16_e32 v30, v46, v30
	v_fma_f16 v24, v24, 2.0, -v51
	s_mov_b32 s0, 0xb9a8
	v_sub_f16_e32 v43, v54, v43
	v_fma_f16 v33, v33, 2.0, -v23
	v_sub_f16_e32 v48, v56, v48
	v_fma_f16 v37, v37, 2.0, -v29
	;; [unrolled: 2-line block ×4, first 2 shown]
	v_fma_f16 v42, v42, 2.0, -v28
	v_fma_f16 v46, v46, 2.0, -v30
	v_sub_f16_e32 v58, v53, v55
	v_fma_f16 v55, v24, s0, v22
	s_movk_i32 s1, 0x39a8
	v_fma_f16 v54, v54, 2.0, -v43
	v_fma_f16 v56, v56, 2.0, -v48
	;; [unrolled: 1-line block ×4, first 2 shown]
	v_sub_f16_e32 v37, v33, v37
	v_add_f16_e32 v48, v48, v23
	v_sub_f16_e32 v27, v35, v27
	v_add_f16_e32 v50, v50, v25
	v_fma_f16 v59, v46, s0, v42
	v_fma_f16 v60, v46, s1, v55
	v_sub_f16_e32 v36, v32, v36
	v_sub_f16_e32 v26, v34, v26
	;; [unrolled: 1-line block ×3, first 2 shown]
	v_fma_f16 v33, v33, 2.0, -v37
	v_sub_f16_e32 v29, v43, v29
	v_fma_f16 v23, v23, 2.0, -v48
	v_sub_f16_e32 v47, v52, v47
	;; [unrolled: 2-line block ×3, first 2 shown]
	v_fma_f16 v25, v25, 2.0, -v50
	v_fma_f16 v59, v24, s0, v59
	v_fma_f16 v55, v22, 2.0, -v60
	v_fma_f16 v22, v51, s1, v49
	v_fma_f16 v24, v30, s1, v28
	v_fma_f16 v32, v32, 2.0, -v36
	v_fma_f16 v34, v34, 2.0, -v26
	;; [unrolled: 1-line block ×6, first 2 shown]
	v_fma_f16 v64, v30, s1, v22
	v_fma_f16 v65, v51, s0, v24
	v_sub_f16_e32 v35, v33, v35
	v_fma_f16 v24, v25, s0, v23
	v_sub_f16_e32 v34, v32, v34
	v_add_f16_e32 v62, v45, v36
	v_sub_f16_e32 v63, v57, v26
	v_fma_f16 v30, v49, 2.0, -v64
	v_sub_f16_e32 v49, v54, v52
	v_fma_f16 v22, v33, 2.0, -v35
	v_fma_f16 v33, v44, s0, v43
	v_fma_f16 v52, v44, s1, v24
	v_fma_f16 v32, v32, 2.0, -v34
	v_fma_f16 v53, v53, 2.0, -v58
	;; [unrolled: 1-line block ×6, first 2 shown]
	v_fma_f16 v54, v25, s0, v33
	v_fma_f16 v23, v23, 2.0, -v52
	v_add_f16_e32 v57, v47, v37
	v_fma_f16 v24, v50, s1, v48
	s_mov_b32 s2, 0xbb64
	v_fma_f16 v61, v42, 2.0, -v59
	v_fma_f16 v25, v43, 2.0, -v54
	v_sub_f16_e32 v66, v56, v27
	v_fma_f16 v27, v37, 2.0, -v57
	v_fma_f16 v67, v31, s1, v24
	v_sub_f16_e32 v24, v32, v22
	v_sub_f16_e32 v44, v53, v28
	v_fma_f16 v28, v23, s2, v55
	s_movk_i32 s3, 0x361f
	v_fma_f16 v33, v56, 2.0, -v66
	v_fma_f16 v37, v31, s1, v29
	v_fma_f16 v22, v32, 2.0, -v24
	v_fma_f16 v32, v25, s2, v61
	v_fma_f16 v25, v25, s3, v28
	s_mov_b32 s4, 0xb61f
	v_fma_f16 v28, v27, s0, v26
	v_fma_f16 v37, v50, s0, v37
	v_fma_f16 v31, v48, 2.0, -v67
	v_fma_f16 v46, v23, s4, v32
	v_fma_f16 v32, v33, s1, v28
	v_fma_f16 v29, v29, 2.0, -v37
	v_fma_f16 v28, v26, 2.0, -v32
	v_fma_f16 v26, v31, s4, v30
	s_movk_i32 s5, 0x3b64
	v_fma_f16 v47, v33, s0, v36
	v_fma_f16 v33, v29, s5, v26
	v_fma_f16 v23, v55, 2.0, -v25
	v_fma_f16 v55, v27, s0, v47
	v_fma_f16 v27, v29, s4, v45
	v_fma_f16 v29, v30, 2.0, -v33
	v_add_f16_e32 v30, v49, v34
	v_sub_f16_e32 v48, v58, v35
	v_fma_f16 v26, v34, 2.0, -v30
	v_fma_f16 v34, v54, s3, v59
	v_fma_f16 v35, v66, s1, v63
	v_fma_f16 v42, v53, 2.0, -v44
	v_fma_f16 v51, v31, s2, v27
	v_fma_f16 v27, v52, s3, v60
	;; [unrolled: 1-line block ×7, first 2 shown]
	v_fma_f16 v50, v36, 2.0, -v55
	v_fma_f16 v31, v54, s5, v27
	v_fma_f16 v36, v66, s1, v34
	;; [unrolled: 1-line block ×4, first 2 shown]
	v_fma_f16 v43, v61, 2.0, -v46
	v_fma_f16 v47, v45, 2.0, -v51
	;; [unrolled: 1-line block ×9, first 2 shown]
	s_barrier
	s_and_saveexec_b64 s[0:1], vcc
	s_cbranch_execz .LBB0_17
; %bb.16:
	s_mov_b32 s2, 0x5040100
	v_perm_b32 v61, v47, v29, s2
	v_perm_b32 v60, v50, v28, s2
	;; [unrolled: 1-line block ×4, first 2 shown]
	ds_write_b128 v40, v[58:61]
	v_perm_b32 v61, v53, v35, s2
	v_perm_b32 v60, v56, v34, s2
	v_perm_b32 v59, v49, v27, s2
	v_perm_b32 v58, v45, v26, s2
	ds_write_b128 v40, v[58:61] offset:16
	v_perm_b32 v61, v51, v33, s2
	v_perm_b32 v60, v55, v32, s2
	v_perm_b32 v59, v46, v25, s2
	v_perm_b32 v58, v44, v24, s2
	ds_write_b128 v40, v[58:61] offset:32
	;; [unrolled: 5-line block ×3, first 2 shown]
.LBB0_17:
	s_or_b64 exec, exec, s[0:1]
	s_waitcnt lgkmcnt(0)
	s_barrier
	s_and_saveexec_b64 s[0:1], vcc
	s_cbranch_execz .LBB0_19
; %bb.18:
	v_add_u32_e32 v24, 0x200, v38
	ds_read2_b32 v[28:29], v24 offset0:64 offset1:160
	v_add_u32_e32 v24, 0x400, v38
	ds_read2_b32 v[26:27], v24 offset0:128 offset1:224
	v_add_u32_e32 v24, 0x800, v38
	v_add_u32_e32 v30, 0xe00, v38
	ds_read2_b32 v[34:35], v24 offset0:64 offset1:160
	v_add_u32_e32 v24, 0xc00, v38
	ds_read2_b32 v[32:33], v30 offset0:64 offset1:160
	v_add_u32_e32 v30, 0x1000, v38
	v_add_u32_e32 v36, 0x1400, v38
	ds_read2_b32 v[22:23], v38 offset1:96
	ds_read2_b32 v[24:25], v24 offset1:96
	ds_read2_b32 v[30:31], v30 offset0:128 offset1:224
	ds_read2_b32 v[36:37], v36 offset0:64 offset1:160
	s_waitcnt lgkmcnt(7)
	v_lshrrev_b32_e32 v50, 16, v28
	s_waitcnt lgkmcnt(3)
	v_lshrrev_b32_e32 v42, 16, v22
	v_lshrrev_b32_e32 v43, 16, v23
	;; [unrolled: 1-line block ×7, first 2 shown]
	s_waitcnt lgkmcnt(2)
	v_lshrrev_b32_e32 v44, 16, v24
	v_lshrrev_b32_e32 v46, 16, v25
	;; [unrolled: 1-line block ×4, first 2 shown]
	s_waitcnt lgkmcnt(1)
	v_lshrrev_b32_e32 v48, 16, v30
	v_lshrrev_b32_e32 v52, 16, v31
	s_waitcnt lgkmcnt(0)
	v_lshrrev_b32_e32 v57, 16, v36
	v_lshrrev_b32_e32 v54, 16, v37
.LBB0_19:
	s_or_b64 exec, exec, s[0:1]
	s_barrier
	s_and_saveexec_b64 s[0:1], vcc
	s_cbranch_execz .LBB0_21
; %bb.20:
	v_mul_f16_sdwa v59, v6, v56 dst_sel:DWORD dst_unused:UNUSED_PAD src0_sel:WORD_1 src1_sel:DWORD
	v_fma_f16 v59, v6, v34, v59
	v_mul_f16_sdwa v34, v6, v34 dst_sel:DWORD dst_unused:UNUSED_PAD src0_sel:WORD_1 src1_sel:DWORD
	v_mul_f16_sdwa v60, v19, v57 dst_sel:DWORD dst_unused:UNUSED_PAD src0_sel:WORD_1 src1_sel:DWORD
	v_fma_f16 v6, v6, v56, -v34
	v_mul_f16_sdwa v34, v19, v36 dst_sel:DWORD dst_unused:UNUSED_PAD src0_sel:WORD_1 src1_sel:DWORD
	v_mul_f16_sdwa v62, v7, v53 dst_sel:DWORD dst_unused:UNUSED_PAD src0_sel:WORD_1 src1_sel:DWORD
	;; [unrolled: 1-line block ×4, first 2 shown]
	v_fma_f16 v60, v19, v36, v60
	v_fma_f16 v19, v19, v57, -v34
	v_mul_f16_sdwa v34, v2, v50 dst_sel:DWORD dst_unused:UNUSED_PAD src0_sel:WORD_1 src1_sel:DWORD
	v_mul_f16_sdwa v36, v8, v44 dst_sel:DWORD dst_unused:UNUSED_PAD src0_sel:WORD_1 src1_sel:DWORD
	v_fma_f16 v62, v7, v35, v62
	v_fma_f16 v67, v5, v27, v67
	v_mul_f16_sdwa v35, v7, v35 dst_sel:DWORD dst_unused:UNUSED_PAD src0_sel:WORD_1 src1_sel:DWORD
	v_mul_f16_sdwa v27, v5, v27 dst_sel:DWORD dst_unused:UNUSED_PAD src0_sel:WORD_1 src1_sel:DWORD
	v_fma_f16 v40, v2, v50, -v40
	v_mul_f16_sdwa v58, v10, v32 dst_sel:DWORD dst_unused:UNUSED_PAD src0_sel:WORD_1 src1_sel:DWORD
	v_fma_f16 v2, v2, v28, v34
	v_mul_f16_sdwa v28, v10, v55 dst_sel:DWORD dst_unused:UNUSED_PAD src0_sel:WORD_1 src1_sel:DWORD
	v_fma_f16 v36, v8, v24, v36
	v_mul_f16_sdwa v63, v20, v54 dst_sel:DWORD dst_unused:UNUSED_PAD src0_sel:WORD_1 src1_sel:DWORD
	v_mul_f16_sdwa v68, v18, v52 dst_sel:DWORD dst_unused:UNUSED_PAD src0_sel:WORD_1 src1_sel:DWORD
	v_fma_f16 v7, v7, v53, -v35
	v_mul_f16_sdwa v35, v20, v37 dst_sel:DWORD dst_unused:UNUSED_PAD src0_sel:WORD_1 src1_sel:DWORD
	v_fma_f16 v5, v5, v49, -v27
	v_mul_f16_sdwa v27, v18, v31 dst_sel:DWORD dst_unused:UNUSED_PAD src0_sel:WORD_1 src1_sel:DWORD
	v_mul_f16_sdwa v24, v8, v24 dst_sel:DWORD dst_unused:UNUSED_PAD src0_sel:WORD_1 src1_sel:DWORD
	v_fma_f16 v58, v10, v55, -v58
	v_fma_f16 v10, v10, v32, v28
	v_mul_f16_sdwa v32, v4, v26 dst_sel:DWORD dst_unused:UNUSED_PAD src0_sel:WORD_1 src1_sel:DWORD
	v_mul_f16_sdwa v56, v3, v29 dst_sel:DWORD dst_unused:UNUSED_PAD src0_sel:WORD_1 src1_sel:DWORD
	v_fma_f16 v63, v20, v37, v63
	v_mul_f16_sdwa v65, v1, v23 dst_sel:DWORD dst_unused:UNUSED_PAD src0_sel:WORD_1 src1_sel:DWORD
	v_fma_f16 v68, v18, v31, v68
	v_fma_f16 v20, v20, v54, -v35
	v_mul_f16_sdwa v35, v3, v47 dst_sel:DWORD dst_unused:UNUSED_PAD src0_sel:WORD_1 src1_sel:DWORD
	v_fma_f16 v18, v18, v52, -v27
	v_mul_f16_sdwa v27, v1, v43 dst_sel:DWORD dst_unused:UNUSED_PAD src0_sel:WORD_1 src1_sel:DWORD
	v_fma_f16 v8, v8, v44, -v24
	v_mul_f16_sdwa v24, v4, v45 dst_sel:DWORD dst_unused:UNUSED_PAD src0_sel:WORD_1 src1_sel:DWORD
	v_fma_f16 v32, v4, v45, -v32
	v_mul_f16_sdwa v34, v12, v30 dst_sel:DWORD dst_unused:UNUSED_PAD src0_sel:WORD_1 src1_sel:DWORD
	v_fma_f16 v56, v3, v47, -v56
	v_mul_f16_sdwa v57, v11, v33 dst_sel:DWORD dst_unused:UNUSED_PAD src0_sel:WORD_1 src1_sel:DWORD
	v_fma_f16 v65, v1, v43, -v65
	v_mul_f16_sdwa v66, v9, v25 dst_sel:DWORD dst_unused:UNUSED_PAD src0_sel:WORD_1 src1_sel:DWORD
	v_fma_f16 v3, v3, v29, v35
	v_mul_f16_sdwa v29, v11, v51 dst_sel:DWORD dst_unused:UNUSED_PAD src0_sel:WORD_1 src1_sel:DWORD
	v_fma_f16 v1, v1, v23, v27
	v_mul_f16_sdwa v23, v9, v46 dst_sel:DWORD dst_unused:UNUSED_PAD src0_sel:WORD_1 src1_sel:DWORD
	;; [unrolled: 2-line block ×3, first 2 shown]
	v_fma_f16 v34, v12, v48, -v34
	v_fma_f16 v57, v11, v51, -v57
	;; [unrolled: 1-line block ×3, first 2 shown]
	v_fma_f16 v11, v11, v33, v29
	v_fma_f16 v9, v9, v25, v23
	v_fma_f16 v12, v12, v30, v24
	v_sub_f16_e32 v58, v40, v58
	v_sub_f16_e32 v60, v59, v60
	;; [unrolled: 1-line block ×17, first 2 shown]
	v_add_f16_e32 v28, v19, v10
	v_add_f16_e32 v50, v34, v36
	s_movk_i32 s2, 0x39a8
	v_sub_f16_e32 v64, v57, v63
	v_sub_f16_e32 v69, v66, v68
	v_add_f16_e32 v29, v20, v11
	v_add_f16_e32 v23, v18, v9
	v_sub_f16_e32 v24, v8, v12
	v_fma_f16 v37, v40, 2.0, -v58
	v_fma_f16 v6, v6, 2.0, -v19
	;; [unrolled: 1-line block ×8, first 2 shown]
	v_fma_f16 v55, v28, s2, v50
	v_fma_f16 v70, v64, s2, v69
	s_mov_b32 s3, 0xb9a8
	v_fma_f16 v25, v29, s2, v23
	v_fma_f16 v26, v61, s2, v24
	v_sub_f16_e32 v6, v37, v6
	v_sub_f16_e32 v4, v19, v4
	v_fma_f16 v22, v65, 2.0, -v66
	v_fma_f16 v5, v5, 2.0, -v18
	;; [unrolled: 1-line block ×4, first 2 shown]
	v_sub_f16_e32 v7, v43, v7
	v_sub_f16_e32 v20, v1, v20
	v_fma_f16 v55, v61, s2, v55
	v_fma_f16 v33, v29, s3, v70
	;; [unrolled: 1-line block ×3, first 2 shown]
	s_movk_i32 s4, 0x3b64
	v_fma_f16 v26, v28, s3, v26
	v_add_f16_e32 v12, v6, v4
	v_sub_f16_e32 v5, v22, v5
	v_sub_f16_e32 v18, v3, v18
	v_add_f16_e32 v44, v7, v20
	v_fma_f16 v27, v25, s4, v55
	s_movk_i32 s5, 0x361f
	v_fma_f16 v30, v33, s4, v26
	s_mov_b32 s6, 0xb61f
	v_sub_f16_e32 v40, v5, v18
	v_fma_f16 v45, v44, s2, v12
	v_fma_f16 v42, v42, 2.0, -v8
	v_fma_f16 v32, v32, 2.0, -v34
	;; [unrolled: 1-line block ×6, first 2 shown]
	v_fma_f16 v27, v33, s5, v27
	v_fma_f16 v30, v25, s6, v30
	;; [unrolled: 1-line block ×3, first 2 shown]
	v_sub_f16_e32 v32, v42, v32
	v_sub_f16_e32 v34, v2, v34
	v_fma_f16 v36, v36, 2.0, -v50
	v_fma_f16 v10, v10, 2.0, -v28
	v_fma_f16 v54, v53, s3, v52
	v_fma_f16 v11, v11, 2.0, -v29
	v_fma_f16 v9, v9, 2.0, -v23
	;; [unrolled: 1-line block ×7, first 2 shown]
	v_sub_f16_e32 v47, v32, v34
	v_fma_f16 v51, v58, 2.0, -v61
	v_fma_f16 v28, v10, s3, v36
	v_fma_f16 v29, v11, s3, v54
	;; [unrolled: 1-line block ×3, first 2 shown]
	s_mov_b32 s7, 0xbb64
	v_fma_f16 v19, v19, 2.0, -v4
	v_fma_f16 v50, v50, 2.0, -v55
	;; [unrolled: 1-line block ×3, first 2 shown]
	v_fma_f16 v26, v33, s6, v24
	v_fma_f16 v4, v4, 2.0, -v12
	v_fma_f16 v12, v20, 2.0, -v44
	v_fma_f16 v28, v51, s2, v28
	v_fma_f16 v11, v53, s2, v11
	;; [unrolled: 1-line block ×3, first 2 shown]
	v_fma_f16 v22, v22, 2.0, -v5
	v_fma_f16 v1, v1, 2.0, -v20
	v_fma_f16 v25, v23, s6, v50
	v_fma_f16 v23, v23, s7, v26
	v_fma_f16 v5, v5, 2.0, -v40
	v_fma_f16 v20, v12, s3, v4
	v_fma_f16 v26, v32, 2.0, -v47
	v_fma_f16 v53, v11, s5, v28
	v_fma_f16 v10, v10, s3, v51
	v_fma_f16 v2, v2, 2.0, -v34
	v_fma_f16 v7, v43, 2.0, -v7
	;; [unrolled: 1-line block ×5, first 2 shown]
	v_fma_f16 v20, v5, s2, v20
	v_fma_f16 v5, v5, s3, v26
	;; [unrolled: 1-line block ×4, first 2 shown]
	v_sub_f16_e32 v2, v19, v2
	v_sub_f16_e32 v7, v22, v7
	;; [unrolled: 1-line block ×4, first 2 shown]
	v_fma_f16 v5, v12, s3, v5
	v_fma_f16 v54, v28, 2.0, -v53
	v_fma_f16 v51, v11, s7, v51
	v_add_f16_e32 v34, v2, v7
	v_sub_f16_e32 v18, v6, v3
	v_fma_f16 v12, v26, 2.0, -v5
	v_fma_f16 v26, v36, 2.0, -v28
	;; [unrolled: 1-line block ×8, first 2 shown]
	v_fma_f16 v11, v9, s7, v26
	v_fma_f16 v10, v28, s7, v8
	v_fma_f16 v2, v19, 2.0, -v2
	v_fma_f16 v1, v1, 2.0, -v3
	;; [unrolled: 1-line block ×4, first 2 shown]
	v_fma_f16 v48, v40, s2, v47
	v_fma_f16 v11, v28, s5, v11
	;; [unrolled: 1-line block ×3, first 2 shown]
	v_sub_f16_e32 v1, v2, v1
	v_sub_f16_e32 v6, v3, v6
	s_movk_i32 s2, 0x700
	v_fma_f16 v25, v33, s4, v25
	v_fma_f16 v26, v26, 2.0, -v11
	v_fma_f16 v8, v8, 2.0, -v9
	;; [unrolled: 1-line block ×4, first 2 shown]
	v_and_or_b32 v7, v17, s2, v39
	v_fma_f16 v50, v50, 2.0, -v25
	v_fma_f16 v24, v24, 2.0, -v23
	;; [unrolled: 1-line block ×3, first 2 shown]
	v_lshlrev_b32_e32 v7, 2, v7
	v_pack_b32_f16 v2, v2, v3
	v_pack_b32_f16 v3, v26, v8
	v_fma_f16 v48, v44, s3, v48
	ds_write2_b32 v7, v2, v3 offset1:16
	v_pack_b32_f16 v2, v4, v12
	v_pack_b32_f16 v3, v50, v24
	v_fma_f16 v31, v55, 2.0, -v27
	v_fma_f16 v49, v47, 2.0, -v48
	ds_write2_b32 v7, v2, v3 offset0:32 offset1:48
	v_pack_b32_f16 v2, v43, v37
	v_pack_b32_f16 v3, v54, v56
	ds_write2_b32 v7, v2, v3 offset0:64 offset1:80
	v_pack_b32_f16 v2, v46, v49
	v_pack_b32_f16 v3, v31, v35
	;; [unrolled: 3-line block ×6, first 2 shown]
	ds_write2_b32 v7, v1, v2 offset0:224 offset1:240
.LBB0_21:
	s_or_b64 exec, exec, s[0:1]
	s_waitcnt lgkmcnt(0)
	s_barrier
	ds_read2st64_b32 v[1:2], v38 offset1:4
	ds_read2st64_b32 v[3:4], v38 offset0:8 offset1:12
	ds_read2st64_b32 v[5:6], v38 offset0:16 offset1:20
	s_mov_b32 s0, 0xbaee
	s_movk_i32 s1, 0x3aee
	s_waitcnt lgkmcnt(2)
	v_lshrrev_b32_e32 v8, 16, v2
	v_mul_f16_sdwa v17, v13, v8 dst_sel:DWORD dst_unused:UNUSED_PAD src0_sel:WORD_1 src1_sel:DWORD
	s_waitcnt lgkmcnt(1)
	v_lshrrev_b32_e32 v9, 16, v3
	v_fma_f16 v17, v13, v2, v17
	v_mul_f16_sdwa v2, v13, v2 dst_sel:DWORD dst_unused:UNUSED_PAD src0_sel:WORD_1 src1_sel:DWORD
	v_fma_f16 v2, v13, v8, -v2
	v_mul_f16_sdwa v8, v14, v9 dst_sel:DWORD dst_unused:UNUSED_PAD src0_sel:WORD_1 src1_sel:DWORD
	v_lshrrev_b32_e32 v10, 16, v4
	v_fma_f16 v8, v14, v3, v8
	v_mul_f16_sdwa v3, v14, v3 dst_sel:DWORD dst_unused:UNUSED_PAD src0_sel:WORD_1 src1_sel:DWORD
	v_fma_f16 v3, v14, v9, -v3
	v_mul_f16_sdwa v9, v15, v10 dst_sel:DWORD dst_unused:UNUSED_PAD src0_sel:WORD_1 src1_sel:DWORD
	s_waitcnt lgkmcnt(0)
	v_lshrrev_b32_e32 v11, 16, v5
	v_fma_f16 v9, v15, v4, v9
	v_mul_f16_sdwa v4, v15, v4 dst_sel:DWORD dst_unused:UNUSED_PAD src0_sel:WORD_1 src1_sel:DWORD
	v_fma_f16 v4, v15, v10, -v4
	v_mul_f16_sdwa v10, v16, v11 dst_sel:DWORD dst_unused:UNUSED_PAD src0_sel:WORD_1 src1_sel:DWORD
	v_lshrrev_b32_e32 v12, 16, v6
	v_fma_f16 v10, v16, v5, v10
	v_mul_f16_sdwa v5, v16, v5 dst_sel:DWORD dst_unused:UNUSED_PAD src0_sel:WORD_1 src1_sel:DWORD
	v_fma_f16 v5, v16, v11, -v5
	v_mul_f16_sdwa v11, v41, v12 dst_sel:DWORD dst_unused:UNUSED_PAD src0_sel:WORD_1 src1_sel:DWORD
	v_fma_f16 v11, v41, v6, v11
	v_mul_f16_sdwa v6, v41, v6 dst_sel:DWORD dst_unused:UNUSED_PAD src0_sel:WORD_1 src1_sel:DWORD
	v_add_f16_e32 v13, v8, v10
	v_lshrrev_b32_e32 v7, 16, v1
	v_fma_f16 v6, v41, v12, -v6
	v_add_f16_e32 v12, v1, v8
	v_fma_f16 v1, v13, -0.5, v1
	v_sub_f16_e32 v13, v3, v5
	v_fma_f16 v14, v13, s0, v1
	v_fma_f16 v1, v13, s1, v1
	v_add_f16_e32 v13, v7, v3
	v_add_f16_e32 v13, v13, v5
	;; [unrolled: 1-line block ×3, first 2 shown]
	v_sub_f16_e32 v5, v8, v10
	v_add_f16_e32 v8, v9, v11
	v_add_f16_e32 v12, v12, v10
	v_fma_f16 v8, v8, -0.5, v17
	v_sub_f16_e32 v10, v4, v6
	v_fma_f16 v15, v10, s0, v8
	v_fma_f16 v8, v10, s1, v8
	v_add_f16_e32 v10, v2, v4
	v_add_f16_e32 v4, v4, v6
	v_fma_f16 v2, v4, -0.5, v2
	v_sub_f16_e32 v4, v9, v11
	v_fma_f16 v3, v3, -0.5, v7
	v_add_f16_e32 v10, v10, v6
	v_fma_f16 v6, v4, s1, v2
	v_fma_f16 v7, v5, s1, v3
	;; [unrolled: 1-line block ×3, first 2 shown]
	v_add_f16_e32 v5, v17, v9
	v_fma_f16 v2, v4, s0, v2
	v_mul_f16_e32 v9, 0xbaee, v6
	v_mul_f16_e32 v6, 0.5, v6
	v_add_f16_e32 v5, v5, v11
	v_fma_f16 v9, v15, 0.5, v9
	v_mul_f16_e32 v16, 0xbaee, v2
	v_fma_f16 v6, v15, s1, v6
	v_mul_f16_e32 v2, -0.5, v2
	v_add_f16_e32 v4, v12, v5
	v_add_f16_e32 v11, v14, v9
	v_fma_f16 v16, v8, -0.5, v16
	v_add_f16_e32 v18, v13, v10
	v_add_f16_e32 v15, v7, v6
	v_fma_f16 v2, v8, s1, v2
	v_add_f16_e32 v17, v1, v16
	v_add_f16_e32 v8, v3, v2
	v_sub_f16_e32 v5, v12, v5
	v_sub_f16_e32 v10, v13, v10
	;; [unrolled: 1-line block ×3, first 2 shown]
	v_pack_b32_f16 v3, v4, v18
	v_pack_b32_f16 v4, v11, v15
	v_sub_f16_e32 v9, v14, v9
	v_sub_f16_e32 v1, v1, v16
	;; [unrolled: 1-line block ×3, first 2 shown]
	ds_write2st64_b32 v38, v3, v4 offset1:4
	v_pack_b32_f16 v3, v17, v8
	v_pack_b32_f16 v4, v5, v10
	ds_write2st64_b32 v38, v3, v4 offset0:8 offset1:12
	v_pack_b32_f16 v3, v9, v6
	v_pack_b32_f16 v1, v1, v2
	ds_write2st64_b32 v38, v3, v1 offset0:16 offset1:20
	s_waitcnt lgkmcnt(0)
	s_barrier
	s_and_b64 exec, exec, vcc
	s_cbranch_execz .LBB0_23
; %bb.22:
	global_load_dword v11, v38, s[12:13]
	global_load_dword v10, v38, s[12:13] offset:384
	ds_read2_b32 v[1:2], v38 offset1:96
	s_mov_b32 s6, 0x55555555
	s_mov_b32 s7, 0x3f455555
	v_mad_u64_u32 v[3:4], s[0:1], s10, v21, 0
	s_waitcnt lgkmcnt(0)
	v_lshrrev_b32_e32 v17, 16, v1
	v_mad_u64_u32 v[5:6], s[0:1], s8, v0, 0
	v_mov_b32_e32 v9, s13
	s_movk_i32 s18, 0x1ff
	v_add_co_u32_e32 v15, vcc, s12, v38
	global_load_dword v12, v38, s[12:13] offset:768
	global_load_dword v13, v38, s[12:13] offset:1152
	;; [unrolled: 1-line block ×3, first 2 shown]
	v_addc_co_u32_e32 v16, vcc, 0, v9, vcc
	s_movk_i32 s17, 0xffe
	v_mov_b32_e32 v7, 0x7c00
	s_movk_i32 s16, 0x40f
	s_mov_b32 s10, 0x8000
	v_or_b32_e32 v8, 0x480, v0
	v_lshlrev_b32_e32 v9, 2, v8
	global_load_dword v9, v9, s[12:13]
	s_movk_i32 s19, 0x1000
	s_waitcnt vmcnt(5)
	v_mul_f16_sdwa v18, v17, v11 dst_sel:DWORD dst_unused:UNUSED_PAD src0_sel:DWORD src1_sel:WORD_1
	v_fma_f16 v18, v1, v11, v18
	v_mul_f16_sdwa v1, v1, v11 dst_sel:DWORD dst_unused:UNUSED_PAD src0_sel:DWORD src1_sel:WORD_1
	v_cvt_f32_f16_e32 v18, v18
	v_fma_f16 v1, v11, v17, -v1
	v_cvt_f32_f16_e32 v11, v1
	v_mov_b32_e32 v1, v4
	v_cvt_f64_f32_e32 v[17:18], v18
	v_mad_u64_u32 v[21:22], s[0:1], s11, v21, v[1:2]
	v_cvt_f64_f32_e32 v[19:20], v11
	v_mul_f64 v[17:18], v[17:18], s[6:7]
	v_mov_b32_e32 v4, v6
	v_mad_u64_u32 v[22:23], s[0:1], s9, v0, v[4:5]
	v_mul_f64 v[19:20], v[19:20], s[6:7]
	v_mov_b32_e32 v4, v21
	v_lshrrev_b32_e32 v1, 16, v2
	s_waitcnt vmcnt(4)
	v_mul_f16_sdwa v6, v1, v10 dst_sel:DWORD dst_unused:UNUSED_PAD src0_sel:DWORD src1_sel:WORD_1
	v_and_or_b32 v11, v18, s18, v17
	v_cmp_ne_u32_e32 vcc, 0, v11
	v_lshrrev_b32_e32 v17, 8, v18
	v_bfe_u32 v21, v18, 20, 11
	v_and_or_b32 v19, v20, s18, v19
	v_cndmask_b32_e64 v11, 0, 1, vcc
	v_cmp_ne_u32_e32 vcc, 0, v19
	v_lshrrev_b32_e32 v23, 8, v20
	v_bfe_u32 v24, v20, 20, 11
	v_sub_u32_e32 v25, 0x3f1, v21
	v_cndmask_b32_e64 v19, 0, 1, vcc
	v_and_or_b32 v11, v17, s17, v11
	v_sub_u32_e32 v26, 0x3f1, v24
	v_med3_i32 v17, v25, 0, 13
	v_and_or_b32 v19, v23, s17, v19
	v_or_b32_e32 v25, 0x1000, v11
	v_add_u32_e32 v21, 0xfffffc10, v21
	v_med3_i32 v23, v26, 0, 13
	v_cmp_ne_u32_e32 vcc, 0, v11
	v_or_b32_e32 v27, 0x1000, v19
	v_lshrrev_b32_e32 v29, v17, v25
	v_add_u32_e32 v24, 0xfffffc10, v24
	v_lshl_or_b32 v26, v21, 12, v11
	v_cndmask_b32_e64 v11, 0, 1, vcc
	v_cmp_ne_u32_e32 vcc, 0, v19
	v_lshrrev_b32_e32 v30, v23, v27
	v_lshlrev_b32_e32 v17, v17, v29
	v_lshl_or_b32 v28, v24, 12, v19
	v_cndmask_b32_e64 v19, 0, 1, vcc
	v_lshlrev_b32_e32 v23, v23, v30
	v_cmp_ne_u32_e32 vcc, v17, v25
	v_cndmask_b32_e64 v17, 0, 1, vcc
	v_cmp_ne_u32_e32 vcc, v23, v27
	v_cndmask_b32_e64 v23, 0, 1, vcc
	v_or_b32_e32 v17, v29, v17
	v_cmp_gt_i32_e32 vcc, 1, v21
	v_cndmask_b32_e32 v17, v26, v17, vcc
	v_or_b32_e32 v23, v30, v23
	v_cmp_gt_i32_e32 vcc, 1, v24
	v_and_b32_e32 v25, 7, v17
	v_cndmask_b32_e32 v23, v28, v23, vcc
	v_cmp_lt_i32_e32 vcc, 5, v25
	v_cmp_eq_u32_e64 s[0:1], 3, v25
	v_lshrrev_b32_e32 v17, 2, v17
	v_and_b32_e32 v26, 7, v23
	s_or_b64 vcc, s[0:1], vcc
	v_cmp_lt_i32_e64 s[2:3], 5, v26
	v_cmp_eq_u32_e64 s[4:5], 3, v26
	v_addc_co_u32_e32 v17, vcc, 0, v17, vcc
	v_lshrrev_b32_e32 v23, 2, v23
	s_or_b64 vcc, s[4:5], s[2:3]
	v_addc_co_u32_e32 v23, vcc, 0, v23, vcc
	v_cmp_gt_i32_e32 vcc, 31, v21
	v_cndmask_b32_e32 v17, v7, v17, vcc
	v_cmp_gt_i32_e32 vcc, 31, v24
	v_lshl_or_b32 v11, v11, 9, v7
	v_cndmask_b32_e32 v23, v7, v23, vcc
	v_cmp_eq_u32_e32 vcc, s16, v21
	v_lshrrev_b32_e32 v18, 16, v18
	v_cndmask_b32_e32 v11, v17, v11, vcc
	v_fma_f16 v6, v2, v10, v6
	v_and_or_b32 v11, v18, s10, v11
	v_cvt_f32_f16_e32 v18, v6
	v_lshl_or_b32 v19, v19, 9, v7
	v_cmp_eq_u32_e32 vcc, s16, v24
	v_lshrrev_b32_e32 v20, 16, v20
	v_cndmask_b32_e32 v17, v23, v19, vcc
	v_and_or_b32 v19, v20, s10, v17
	v_cvt_f64_f32_e32 v[17:18], v18
	v_lshlrev_b64 v[3:4], 2, v[3:4]
	v_mov_b32_e32 v6, v22
	v_and_b32_e32 v11, 0xffff, v11
	v_mul_f64 v[17:18], v[17:18], s[6:7]
	v_lshl_or_b32 v11, v19, 16, v11
	v_mov_b32_e32 v19, s15
	v_add_co_u32_e32 v3, vcc, s14, v3
	v_lshlrev_b64 v[5:6], 2, v[5:6]
	v_addc_co_u32_e32 v4, vcc, v19, v4, vcc
	v_add_co_u32_e32 v5, vcc, v3, v5
	v_addc_co_u32_e32 v6, vcc, v4, v6, vcc
	global_store_dword v[5:6], v11, off
	v_and_or_b32 v11, v18, s18, v17
	v_mul_f16_sdwa v2, v2, v10 dst_sel:DWORD dst_unused:UNUSED_PAD src0_sel:DWORD src1_sel:WORD_1
	v_cmp_ne_u32_e32 vcc, 0, v11
	v_fma_f16 v1, v10, v1, -v2
	v_cndmask_b32_e64 v11, 0, 1, vcc
	v_lshrrev_b32_e32 v17, 8, v18
	v_bfe_u32 v19, v18, 20, 11
	v_cvt_f32_f16_e32 v1, v1
	v_and_or_b32 v11, v17, s17, v11
	v_sub_u32_e32 v20, 0x3f1, v19
	v_or_b32_e32 v17, 0x1000, v11
	v_med3_i32 v20, v20, 0, 13
	v_lshrrev_b32_e32 v21, v20, v17
	v_lshlrev_b32_e32 v20, v20, v21
	v_cvt_f64_f32_e32 v[1:2], v1
	v_cmp_ne_u32_e32 vcc, v20, v17
	v_cndmask_b32_e64 v17, 0, 1, vcc
	v_add_u32_e32 v19, 0xfffffc10, v19
	v_or_b32_e32 v17, v21, v17
	v_lshl_or_b32 v20, v19, 12, v11
	v_cmp_gt_i32_e32 vcc, 1, v19
	v_cndmask_b32_e32 v17, v20, v17, vcc
	v_mul_f64 v[1:2], v[1:2], s[6:7]
	v_and_b32_e32 v20, 7, v17
	v_cmp_lt_i32_e32 vcc, 5, v20
	v_cmp_eq_u32_e64 s[0:1], 3, v20
	v_lshrrev_b32_e32 v10, 2, v17
	s_or_b64 vcc, s[0:1], vcc
	v_addc_co_u32_e32 v10, vcc, 0, v10, vcc
	v_cmp_gt_i32_e32 vcc, 31, v19
	v_cndmask_b32_e32 v10, v7, v10, vcc
	v_cmp_ne_u32_e32 vcc, 0, v11
	v_cndmask_b32_e64 v11, 0, 1, vcc
	v_lshl_or_b32 v11, v11, 9, v7
	v_cmp_eq_u32_e32 vcc, s16, v19
	v_and_or_b32 v1, v2, s18, v1
	v_cndmask_b32_e32 v10, v10, v11, vcc
	v_lshrrev_b32_e32 v11, 16, v18
	v_cmp_ne_u32_e32 vcc, 0, v1
	v_and_or_b32 v17, v11, s10, v10
	v_cndmask_b32_e64 v1, 0, 1, vcc
	v_lshrrev_b32_e32 v10, 8, v2
	v_bfe_u32 v11, v2, 20, 11
	v_and_or_b32 v1, v10, s17, v1
	v_sub_u32_e32 v18, 0x3f1, v11
	v_or_b32_e32 v10, 0x1000, v1
	v_med3_i32 v18, v18, 0, 13
	v_lshrrev_b32_e32 v19, v18, v10
	v_lshlrev_b32_e32 v18, v18, v19
	v_cmp_ne_u32_e32 vcc, v18, v10
	v_cndmask_b32_e64 v10, 0, 1, vcc
	v_add_u32_e32 v18, 0xfffffc10, v11
	v_or_b32_e32 v10, v19, v10
	v_lshl_or_b32 v11, v18, 12, v1
	v_cmp_gt_i32_e32 vcc, 1, v18
	v_cndmask_b32_e32 v10, v11, v10, vcc
	v_and_b32_e32 v11, 7, v10
	v_cmp_lt_i32_e32 vcc, 5, v11
	v_cmp_eq_u32_e64 s[0:1], 3, v11
	v_lshrrev_b32_e32 v10, 2, v10
	s_or_b64 vcc, s[0:1], vcc
	v_addc_co_u32_e32 v10, vcc, 0, v10, vcc
	v_cmp_gt_i32_e32 vcc, 31, v18
	v_cndmask_b32_e32 v19, v7, v10, vcc
	v_add_u32_e32 v10, 0x200, v38
	ds_read2_b32 v[10:11], v10 offset0:64 offset1:160
	v_cmp_ne_u32_e32 vcc, 0, v1
	v_cndmask_b32_e64 v1, 0, 1, vcc
	v_lshl_or_b32 v1, v1, 9, v7
	v_cmp_eq_u32_e32 vcc, s16, v18
	s_waitcnt lgkmcnt(0)
	v_lshrrev_b32_e32 v18, 16, v10
	v_cndmask_b32_e32 v1, v19, v1, vcc
	s_waitcnt vmcnt(4)
	v_mul_f16_sdwa v19, v18, v12 dst_sel:DWORD dst_unused:UNUSED_PAD src0_sel:DWORD src1_sel:WORD_1
	v_fma_f16 v19, v10, v12, v19
	v_cvt_f32_f16_e32 v19, v19
	v_lshrrev_b32_e32 v2, 16, v2
	v_and_or_b32 v1, v2, s10, v1
	v_and_b32_e32 v2, 0xffff, v17
	v_lshl_or_b32 v17, v1, 16, v2
	v_cvt_f64_f32_e32 v[1:2], v19
	s_mul_i32 s0, s9, 0x180
	s_mul_hi_u32 s2, s8, 0x180
	s_add_i32 s2, s2, s0
	v_mul_f64 v[1:2], v[1:2], s[6:7]
	s_mul_i32 s3, s8, 0x180
	v_mov_b32_e32 v19, s2
	v_add_co_u32_e32 v5, vcc, s3, v5
	v_addc_co_u32_e32 v6, vcc, v6, v19, vcc
	global_store_dword v[5:6], v17, off
	v_and_or_b32 v1, v2, s18, v1
	v_cmp_ne_u32_e32 vcc, 0, v1
	v_cndmask_b32_e64 v1, 0, 1, vcc
	v_lshrrev_b32_e32 v17, 8, v2
	v_bfe_u32 v19, v2, 20, 11
	v_and_or_b32 v1, v17, s17, v1
	v_sub_u32_e32 v20, 0x3f1, v19
	v_or_b32_e32 v17, 0x1000, v1
	v_med3_i32 v20, v20, 0, 13
	v_lshrrev_b32_e32 v21, v20, v17
	v_mul_f16_sdwa v10, v10, v12 dst_sel:DWORD dst_unused:UNUSED_PAD src0_sel:DWORD src1_sel:WORD_1
	v_lshlrev_b32_e32 v20, v20, v21
	v_fma_f16 v10, v12, v18, -v10
	v_cmp_ne_u32_e32 vcc, v20, v17
	v_cvt_f32_f16_e32 v10, v10
	v_cndmask_b32_e64 v17, 0, 1, vcc
	v_add_u32_e32 v19, 0xfffffc10, v19
	v_or_b32_e32 v17, v21, v17
	v_lshl_or_b32 v20, v19, 12, v1
	v_cmp_gt_i32_e32 vcc, 1, v19
	v_cndmask_b32_e32 v17, v20, v17, vcc
	v_and_b32_e32 v20, 7, v17
	v_lshrrev_b32_e32 v12, 2, v17
	v_cvt_f64_f32_e32 v[17:18], v10
	v_cmp_lt_i32_e32 vcc, 5, v20
	v_cmp_eq_u32_e64 s[0:1], 3, v20
	s_or_b64 vcc, s[0:1], vcc
	v_mul_f64 v[17:18], v[17:18], s[6:7]
	v_addc_co_u32_e32 v10, vcc, 0, v12, vcc
	v_cmp_gt_i32_e32 vcc, 31, v19
	v_cndmask_b32_e32 v10, v7, v10, vcc
	v_cmp_ne_u32_e32 vcc, 0, v1
	v_cndmask_b32_e64 v1, 0, 1, vcc
	v_lshl_or_b32 v1, v1, 9, v7
	v_cmp_eq_u32_e32 vcc, s16, v19
	v_cndmask_b32_e32 v1, v10, v1, vcc
	v_lshrrev_b32_e32 v2, 16, v2
	v_and_or_b32 v10, v2, s10, v1
	v_and_or_b32 v1, v18, s18, v17
	v_cmp_ne_u32_e32 vcc, 0, v1
	v_cndmask_b32_e64 v1, 0, 1, vcc
	v_lshrrev_b32_e32 v2, 8, v18
	v_bfe_u32 v12, v18, 20, 11
	v_and_or_b32 v1, v2, s17, v1
	v_sub_u32_e32 v17, 0x3f1, v12
	v_or_b32_e32 v2, 0x1000, v1
	v_med3_i32 v17, v17, 0, 13
	v_lshrrev_b32_e32 v19, v17, v2
	v_lshlrev_b32_e32 v17, v17, v19
	v_cmp_ne_u32_e32 vcc, v17, v2
	v_cndmask_b32_e64 v2, 0, 1, vcc
	v_add_u32_e32 v12, 0xfffffc10, v12
	v_or_b32_e32 v2, v19, v2
	v_lshl_or_b32 v17, v12, 12, v1
	v_cmp_gt_i32_e32 vcc, 1, v12
	v_cndmask_b32_e32 v2, v17, v2, vcc
	v_and_b32_e32 v17, 7, v2
	v_cmp_lt_i32_e32 vcc, 5, v17
	v_cmp_eq_u32_e64 s[0:1], 3, v17
	v_lshrrev_b32_e32 v17, 16, v11
	v_lshrrev_b32_e32 v2, 2, v2
	s_or_b64 vcc, s[0:1], vcc
	s_waitcnt vmcnt(4)
	v_mul_f16_sdwa v19, v17, v13 dst_sel:DWORD dst_unused:UNUSED_PAD src0_sel:DWORD src1_sel:WORD_1
	v_addc_co_u32_e32 v2, vcc, 0, v2, vcc
	v_fma_f16 v19, v11, v13, v19
	v_cmp_gt_i32_e32 vcc, 31, v12
	v_cvt_f32_f16_e32 v19, v19
	v_cndmask_b32_e32 v2, v7, v2, vcc
	v_cmp_ne_u32_e32 vcc, 0, v1
	v_cndmask_b32_e64 v1, 0, 1, vcc
	v_lshl_or_b32 v1, v1, 9, v7
	v_cmp_eq_u32_e32 vcc, s16, v12
	v_cndmask_b32_e32 v12, v2, v1, vcc
	v_cvt_f64_f32_e32 v[1:2], v19
	v_lshrrev_b32_e32 v18, 16, v18
	v_and_or_b32 v12, v18, s10, v12
	v_and_b32_e32 v10, 0xffff, v10
	v_mul_f64 v[1:2], v[1:2], s[6:7]
	v_lshl_or_b32 v10, v12, 16, v10
	v_mov_b32_e32 v12, s2
	v_add_co_u32_e32 v5, vcc, s3, v5
	v_addc_co_u32_e32 v6, vcc, v6, v12, vcc
	global_store_dword v[5:6], v10, off
	v_and_or_b32 v1, v2, s18, v1
	v_cmp_ne_u32_e32 vcc, 0, v1
	v_cndmask_b32_e64 v1, 0, 1, vcc
	v_lshrrev_b32_e32 v10, 8, v2
	v_bfe_u32 v12, v2, 20, 11
	v_and_or_b32 v1, v10, s17, v1
	v_sub_u32_e32 v18, 0x3f1, v12
	v_or_b32_e32 v10, 0x1000, v1
	v_med3_i32 v18, v18, 0, 13
	v_lshrrev_b32_e32 v19, v18, v10
	v_mul_f16_sdwa v11, v11, v13 dst_sel:DWORD dst_unused:UNUSED_PAD src0_sel:DWORD src1_sel:WORD_1
	v_lshlrev_b32_e32 v18, v18, v19
	v_fma_f16 v11, v13, v17, -v11
	v_cmp_ne_u32_e32 vcc, v18, v10
	v_cvt_f32_f16_e32 v11, v11
	v_cndmask_b32_e64 v10, 0, 1, vcc
	v_add_u32_e32 v12, 0xfffffc10, v12
	v_or_b32_e32 v10, v19, v10
	v_lshl_or_b32 v18, v12, 12, v1
	v_cmp_gt_i32_e32 vcc, 1, v12
	v_cndmask_b32_e32 v10, v18, v10, vcc
	v_and_b32_e32 v18, 7, v10
	v_lshrrev_b32_e32 v13, 2, v10
	v_cvt_f64_f32_e32 v[10:11], v11
	v_cmp_lt_i32_e32 vcc, 5, v18
	v_cmp_eq_u32_e64 s[0:1], 3, v18
	s_or_b64 vcc, s[0:1], vcc
	v_mul_f64 v[10:11], v[10:11], s[6:7]
	v_addc_co_u32_e32 v13, vcc, 0, v13, vcc
	v_cmp_gt_i32_e32 vcc, 31, v12
	v_cndmask_b32_e32 v13, v7, v13, vcc
	v_cmp_ne_u32_e32 vcc, 0, v1
	v_cndmask_b32_e64 v1, 0, 1, vcc
	v_lshl_or_b32 v1, v1, 9, v7
	v_cmp_eq_u32_e32 vcc, s16, v12
	v_cndmask_b32_e32 v1, v13, v1, vcc
	v_lshrrev_b32_e32 v2, 16, v2
	v_and_or_b32 v12, v2, s10, v1
	v_and_or_b32 v1, v11, s18, v10
	v_cmp_ne_u32_e32 vcc, 0, v1
	v_cndmask_b32_e64 v1, 0, 1, vcc
	v_lshrrev_b32_e32 v2, 8, v11
	v_and_or_b32 v10, v2, s17, v1
	v_bfe_u32 v2, v11, 20, 11
	v_sub_u32_e32 v13, 0x3f1, v2
	v_or_b32_e32 v1, 0x1000, v10
	v_med3_i32 v13, v13, 0, 13
	v_lshrrev_b32_e32 v17, v13, v1
	v_lshlrev_b32_e32 v13, v13, v17
	v_cmp_ne_u32_e32 vcc, v13, v1
	v_cndmask_b32_e64 v1, 0, 1, vcc
	v_add_u32_e32 v13, 0xfffffc10, v2
	v_or_b32_e32 v1, v17, v1
	v_lshl_or_b32 v2, v13, 12, v10
	v_cmp_gt_i32_e32 vcc, 1, v13
	v_cndmask_b32_e32 v1, v2, v1, vcc
	v_and_b32_e32 v2, 7, v1
	v_cmp_lt_i32_e32 vcc, 5, v2
	v_cmp_eq_u32_e64 s[0:1], 3, v2
	v_lshrrev_b32_e32 v1, 2, v1
	s_or_b64 vcc, s[0:1], vcc
	v_addc_co_u32_e32 v17, vcc, 0, v1, vcc
	v_cmp_gt_i32_e32 vcc, 31, v13
	v_cndmask_b32_e32 v17, v7, v17, vcc
	v_cmp_ne_u32_e32 vcc, 0, v10
	v_cndmask_b32_e64 v10, 0, 1, vcc
	v_lshl_or_b32 v10, v10, 9, v7
	v_cmp_eq_u32_e32 vcc, s16, v13
	v_cndmask_b32_e32 v13, v17, v10, vcc
	v_lshrrev_b32_e32 v17, 16, v11
	v_and_or_b32 v13, v17, s10, v13
	v_and_b32_e32 v12, 0xffff, v12
	v_lshl_or_b32 v12, v13, 16, v12
	v_mov_b32_e32 v13, s2
	v_add_co_u32_e32 v5, vcc, s3, v5
	v_addc_co_u32_e32 v6, vcc, v6, v13, vcc
	global_load_dword v13, v38, s[12:13] offset:1920
	v_add_u32_e32 v1, 0x400, v38
	ds_read2_b32 v[1:2], v1 offset0:128 offset1:224
	global_store_dword v[5:6], v12, off
	v_or_b32_e32 v12, 0x180, v0
	s_mul_i32 s4, s9, 0x300
	s_waitcnt lgkmcnt(0)
	v_lshrrev_b32_e32 v18, 16, v1
	s_waitcnt vmcnt(6)
	v_mul_f16_sdwa v19, v18, v14 dst_sel:DWORD dst_unused:UNUSED_PAD src0_sel:DWORD src1_sel:WORD_1
	v_fma_f16 v19, v1, v14, v19
	v_cvt_f32_f16_e32 v19, v19
	v_mul_f16_sdwa v1, v1, v14 dst_sel:DWORD dst_unused:UNUSED_PAD src0_sel:DWORD src1_sel:WORD_1
	v_fma_f16 v1, v14, v18, -v1
	v_cvt_f32_f16_e32 v1, v1
	v_cvt_f64_f32_e32 v[10:11], v19
	v_mul_f64 v[10:11], v[10:11], s[6:7]
	v_and_or_b32 v0, v11, s18, v10
	v_cmp_ne_u32_e32 vcc, 0, v0
	v_cndmask_b32_e64 v0, 0, 1, vcc
	v_lshrrev_b32_e32 v10, 8, v11
	v_bfe_u32 v17, v11, 20, 11
	v_and_or_b32 v10, v10, s17, v0
	v_sub_u32_e32 v19, 0x3f1, v17
	v_or_b32_e32 v0, 0x1000, v10
	v_med3_i32 v19, v19, 0, 13
	v_lshrrev_b32_e32 v20, v19, v0
	v_lshlrev_b32_e32 v19, v19, v20
	v_cmp_ne_u32_e32 vcc, v19, v0
	v_cndmask_b32_e64 v0, 0, 1, vcc
	v_add_u32_e32 v17, 0xfffffc10, v17
	v_or_b32_e32 v0, v20, v0
	v_lshl_or_b32 v19, v17, 12, v10
	v_cmp_gt_i32_e32 vcc, 1, v17
	v_cndmask_b32_e32 v0, v19, v0, vcc
	v_and_b32_e32 v19, 7, v0
	v_lshrrev_b32_e32 v14, 2, v0
	v_cvt_f64_f32_e32 v[0:1], v1
	v_cmp_lt_i32_e32 vcc, 5, v19
	v_cmp_eq_u32_e64 s[0:1], 3, v19
	s_or_b64 vcc, s[0:1], vcc
	v_mul_f64 v[0:1], v[0:1], s[6:7]
	v_addc_co_u32_e32 v14, vcc, 0, v14, vcc
	v_cmp_gt_i32_e32 vcc, 31, v17
	v_cndmask_b32_e32 v14, v7, v14, vcc
	v_cmp_ne_u32_e32 vcc, 0, v10
	v_cndmask_b32_e64 v10, 0, 1, vcc
	v_lshl_or_b32 v10, v10, 9, v7
	v_cmp_eq_u32_e32 vcc, s16, v17
	v_and_or_b32 v0, v1, s18, v0
	v_cndmask_b32_e32 v10, v14, v10, vcc
	v_lshrrev_b32_e32 v11, 16, v11
	v_cmp_ne_u32_e32 vcc, 0, v0
	v_and_or_b32 v14, v11, s10, v10
	v_cndmask_b32_e64 v0, 0, 1, vcc
	v_lshrrev_b32_e32 v10, 8, v1
	v_bfe_u32 v11, v1, 20, 11
	v_and_or_b32 v0, v10, s17, v0
	v_sub_u32_e32 v17, 0x3f1, v11
	v_or_b32_e32 v10, 0x1000, v0
	v_med3_i32 v17, v17, 0, 13
	v_lshrrev_b32_e32 v18, v17, v10
	v_lshlrev_b32_e32 v17, v17, v18
	v_cmp_ne_u32_e32 vcc, v17, v10
	v_cndmask_b32_e64 v10, 0, 1, vcc
	v_add_u32_e32 v17, 0xfffffc10, v11
	global_load_dword v19, v38, s[12:13] offset:2304
	global_load_dword v20, v38, s[12:13] offset:2688
	;; [unrolled: 1-line block ×5, first 2 shown]
	v_or_b32_e32 v10, v18, v10
	v_lshl_or_b32 v11, v17, 12, v0
	v_cmp_gt_i32_e32 vcc, 1, v17
	v_cndmask_b32_e32 v10, v11, v10, vcc
	v_and_b32_e32 v11, 7, v10
	v_cmp_lt_i32_e32 vcc, 5, v11
	v_cmp_eq_u32_e64 s[0:1], 3, v11
	v_lshrrev_b32_e32 v10, 2, v10
	s_or_b64 vcc, s[0:1], vcc
	v_addc_co_u32_e32 v10, vcc, 0, v10, vcc
	v_cmp_gt_i32_e32 vcc, 31, v17
	v_cndmask_b32_e32 v18, v7, v10, vcc
	v_cmp_ne_u32_e32 vcc, 0, v0
	v_mad_u64_u32 v[10:11], s[0:1], s8, v12, 0
	v_cndmask_b32_e64 v0, 0, 1, vcc
	v_lshl_or_b32 v0, v0, 9, v7
	v_cmp_eq_u32_e32 vcc, s16, v17
	v_cndmask_b32_e32 v17, v18, v0, vcc
	v_lshrrev_b32_e32 v18, 16, v2
	v_mov_b32_e32 v0, v11
	s_waitcnt vmcnt(6)
	v_mul_f16_sdwa v11, v18, v13 dst_sel:DWORD dst_unused:UNUSED_PAD src0_sel:DWORD src1_sel:WORD_1
	v_fma_f16 v11, v2, v13, v11
	v_cvt_f32_f16_e32 v24, v11
	v_mad_u64_u32 v[11:12], s[0:1], s9, v12, v[0:1]
	v_lshrrev_b32_e32 v12, 16, v1
	v_cvt_f64_f32_e32 v[0:1], v24
	v_lshlrev_b64 v[10:11], 2, v[10:11]
	v_and_or_b32 v12, v12, s10, v17
	v_add_co_u32_e32 v10, vcc, v3, v10
	v_mul_f64 v[0:1], v[0:1], s[6:7]
	v_and_b32_e32 v14, 0xffff, v14
	v_addc_co_u32_e32 v11, vcc, v4, v11, vcc
	v_lshl_or_b32 v12, v12, 16, v14
	global_store_dword v[10:11], v12, off
	v_mul_f16_sdwa v2, v2, v13 dst_sel:DWORD dst_unused:UNUSED_PAD src0_sel:DWORD src1_sel:WORD_1
	v_fma_f16 v2, v13, v18, -v2
	v_and_or_b32 v0, v1, s18, v0
	v_cmp_ne_u32_e32 vcc, 0, v0
	v_cndmask_b32_e64 v0, 0, 1, vcc
	v_lshrrev_b32_e32 v10, 8, v1
	v_bfe_u32 v11, v1, 20, 11
	v_and_or_b32 v0, v10, s17, v0
	v_sub_u32_e32 v12, 0x3f1, v11
	v_or_b32_e32 v10, 0x1000, v0
	v_med3_i32 v12, v12, 0, 13
	v_lshrrev_b32_e32 v14, v12, v10
	v_lshlrev_b32_e32 v12, v12, v14
	v_cmp_ne_u32_e32 vcc, v12, v10
	v_cndmask_b32_e64 v10, 0, 1, vcc
	v_add_u32_e32 v12, 0xfffffc10, v11
	v_cvt_f32_f16_e32 v2, v2
	v_or_b32_e32 v10, v14, v10
	v_lshl_or_b32 v11, v12, 12, v0
	v_cmp_gt_i32_e32 vcc, 1, v12
	v_cndmask_b32_e32 v10, v11, v10, vcc
	v_and_b32_e32 v11, 7, v10
	v_cmp_lt_i32_e32 vcc, 5, v11
	v_cmp_eq_u32_e64 s[0:1], 3, v11
	v_lshrrev_b32_e32 v13, 2, v10
	v_cvt_f64_f32_e32 v[10:11], v2
	s_or_b64 vcc, s[0:1], vcc
	v_addc_co_u32_e32 v2, vcc, 0, v13, vcc
	v_mul_f64 v[10:11], v[10:11], s[6:7]
	v_cmp_gt_i32_e32 vcc, 31, v12
	v_cndmask_b32_e32 v2, v7, v2, vcc
	v_cmp_ne_u32_e32 vcc, 0, v0
	v_cndmask_b32_e64 v0, 0, 1, vcc
	v_lshl_or_b32 v0, v0, 9, v7
	v_cmp_eq_u32_e32 vcc, s16, v12
	v_cndmask_b32_e32 v0, v2, v0, vcc
	v_lshrrev_b32_e32 v1, 16, v1
	v_and_or_b32 v14, v1, s10, v0
	v_and_or_b32 v0, v11, s18, v10
	v_cmp_ne_u32_e32 vcc, 0, v0
	v_cndmask_b32_e64 v0, 0, 1, vcc
	v_lshrrev_b32_e32 v1, 8, v11
	v_and_or_b32 v2, v1, s17, v0
	v_bfe_u32 v1, v11, 20, 11
	v_sub_u32_e32 v10, 0x3f1, v1
	v_or_b32_e32 v0, 0x1000, v2
	v_med3_i32 v10, v10, 0, 13
	v_lshrrev_b32_e32 v12, v10, v0
	v_lshlrev_b32_e32 v10, v10, v12
	v_cmp_ne_u32_e32 vcc, v10, v0
	v_cndmask_b32_e64 v0, 0, 1, vcc
	v_add_u32_e32 v10, 0xfffffc10, v1
	v_or_b32_e32 v0, v12, v0
	v_lshl_or_b32 v1, v10, 12, v2
	v_cmp_gt_i32_e32 vcc, 1, v10
	v_cndmask_b32_e32 v0, v1, v0, vcc
	v_and_b32_e32 v1, 7, v0
	v_cmp_lt_i32_e32 vcc, 5, v1
	v_cmp_eq_u32_e64 s[0:1], 3, v1
	v_lshrrev_b32_e32 v0, 2, v0
	s_or_b64 vcc, s[0:1], vcc
	v_addc_co_u32_e32 v12, vcc, 0, v0, vcc
	v_add_u32_e32 v0, 0x800, v38
	ds_read2_b32 v[0:1], v0 offset0:64 offset1:160
	v_cmp_gt_i32_e32 vcc, 31, v10
	v_cndmask_b32_e32 v12, v7, v12, vcc
	v_cmp_ne_u32_e32 vcc, 0, v2
	v_cndmask_b32_e64 v2, 0, 1, vcc
	s_waitcnt lgkmcnt(0)
	v_lshrrev_b32_e32 v17, 16, v0
	s_waitcnt vmcnt(5)
	v_mul_f16_sdwa v13, v17, v19 dst_sel:DWORD dst_unused:UNUSED_PAD src0_sel:DWORD src1_sel:WORD_1
	v_fma_f16 v13, v0, v19, v13
	v_cvt_f32_f16_e32 v13, v13
	v_lshl_or_b32 v2, v2, 9, v7
	v_cmp_eq_u32_e32 vcc, s16, v10
	v_cndmask_b32_e32 v2, v12, v2, vcc
	v_cvt_f64_f32_e32 v[12:13], v13
	v_lshrrev_b32_e32 v10, 16, v11
	v_and_or_b32 v18, v10, s10, v2
	v_mov_b32_e32 v2, 0x300
	v_mul_f64 v[10:11], v[12:13], s[6:7]
	v_mad_u64_u32 v[5:6], s[0:1], s8, v2, v[5:6]
	v_and_b32_e32 v12, 0xffff, v14
	v_lshl_or_b32 v12, v18, 16, v12
	v_add_u32_e32 v6, s4, v6
	global_store_dword v[5:6], v12, off
	v_mul_f16_sdwa v0, v0, v19 dst_sel:DWORD dst_unused:UNUSED_PAD src0_sel:DWORD src1_sel:WORD_1
	v_and_or_b32 v10, v11, s18, v10
	v_cmp_ne_u32_e32 vcc, 0, v10
	v_cndmask_b32_e64 v10, 0, 1, vcc
	v_lshrrev_b32_e32 v12, 8, v11
	v_bfe_u32 v13, v11, 20, 11
	v_and_or_b32 v10, v12, s17, v10
	v_sub_u32_e32 v14, 0x3f1, v13
	v_or_b32_e32 v12, 0x1000, v10
	v_med3_i32 v14, v14, 0, 13
	v_lshrrev_b32_e32 v18, v14, v12
	v_lshlrev_b32_e32 v14, v14, v18
	v_cmp_ne_u32_e32 vcc, v14, v12
	v_fma_f16 v0, v19, v17, -v0
	v_cndmask_b32_e64 v12, 0, 1, vcc
	v_add_u32_e32 v14, 0xfffffc10, v13
	v_cvt_f32_f16_e32 v0, v0
	v_or_b32_e32 v12, v18, v12
	v_lshl_or_b32 v13, v14, 12, v10
	v_cmp_gt_i32_e32 vcc, 1, v14
	v_cndmask_b32_e32 v12, v13, v12, vcc
	v_and_b32_e32 v13, 7, v12
	v_cmp_lt_i32_e32 vcc, 5, v13
	v_cmp_eq_u32_e64 s[0:1], 3, v13
	v_lshrrev_b32_e32 v17, 2, v12
	v_cvt_f64_f32_e32 v[12:13], v0
	s_or_b64 vcc, s[0:1], vcc
	v_addc_co_u32_e32 v0, vcc, 0, v17, vcc
	v_mul_f64 v[12:13], v[12:13], s[6:7]
	v_cmp_gt_i32_e32 vcc, 31, v14
	v_cndmask_b32_e32 v0, v7, v0, vcc
	v_cmp_ne_u32_e32 vcc, 0, v10
	v_cndmask_b32_e64 v10, 0, 1, vcc
	v_lshl_or_b32 v10, v10, 9, v7
	v_cmp_eq_u32_e32 vcc, s16, v14
	v_cndmask_b32_e32 v0, v0, v10, vcc
	v_lshrrev_b32_e32 v10, 16, v11
	v_and_or_b32 v0, v10, s10, v0
	v_and_or_b32 v10, v13, s18, v12
	v_cmp_ne_u32_e32 vcc, 0, v10
	v_cndmask_b32_e64 v10, 0, 1, vcc
	v_lshrrev_b32_e32 v11, 8, v13
	v_bfe_u32 v12, v13, 20, 11
	v_and_or_b32 v10, v11, s17, v10
	v_sub_u32_e32 v14, 0x3f1, v12
	v_or_b32_e32 v11, 0x1000, v10
	v_med3_i32 v14, v14, 0, 13
	v_lshrrev_b32_e32 v17, v14, v11
	v_lshlrev_b32_e32 v14, v14, v17
	v_cmp_ne_u32_e32 vcc, v14, v11
	v_cndmask_b32_e64 v11, 0, 1, vcc
	v_add_u32_e32 v12, 0xfffffc10, v12
	v_or_b32_e32 v11, v17, v11
	v_lshl_or_b32 v14, v12, 12, v10
	v_cmp_gt_i32_e32 vcc, 1, v12
	v_cndmask_b32_e32 v11, v14, v11, vcc
	v_and_b32_e32 v14, 7, v11
	v_cmp_lt_i32_e32 vcc, 5, v14
	v_cmp_eq_u32_e64 s[0:1], 3, v14
	v_lshrrev_b32_e32 v14, 16, v1
	v_lshrrev_b32_e32 v11, 2, v11
	s_or_b64 vcc, s[0:1], vcc
	s_waitcnt vmcnt(5)
	v_mul_f16_sdwa v17, v14, v20 dst_sel:DWORD dst_unused:UNUSED_PAD src0_sel:DWORD src1_sel:WORD_1
	v_addc_co_u32_e32 v11, vcc, 0, v11, vcc
	v_fma_f16 v17, v1, v20, v17
	v_cmp_gt_i32_e32 vcc, 31, v12
	v_cvt_f32_f16_e32 v17, v17
	v_cndmask_b32_e32 v11, v7, v11, vcc
	v_cmp_ne_u32_e32 vcc, 0, v10
	v_cndmask_b32_e64 v10, 0, 1, vcc
	v_lshl_or_b32 v10, v10, 9, v7
	v_cmp_eq_u32_e32 vcc, s16, v12
	v_cndmask_b32_e32 v12, v11, v10, vcc
	v_cvt_f64_f32_e32 v[10:11], v17
	v_lshrrev_b32_e32 v13, 16, v13
	v_and_or_b32 v12, v13, s10, v12
	v_and_b32_e32 v0, 0xffff, v0
	v_mul_f64 v[10:11], v[10:11], s[6:7]
	v_lshl_or_b32 v0, v12, 16, v0
	v_mov_b32_e32 v12, s2
	v_add_co_u32_e32 v5, vcc, s3, v5
	v_addc_co_u32_e32 v6, vcc, v6, v12, vcc
	global_store_dword v[5:6], v0, off
	v_and_or_b32 v0, v11, s18, v10
	v_cmp_ne_u32_e32 vcc, 0, v0
	v_cndmask_b32_e64 v0, 0, 1, vcc
	v_lshrrev_b32_e32 v10, 8, v11
	v_bfe_u32 v12, v11, 20, 11
	v_and_or_b32 v10, v10, s17, v0
	v_sub_u32_e32 v13, 0x3f1, v12
	v_or_b32_e32 v0, 0x1000, v10
	v_med3_i32 v13, v13, 0, 13
	v_lshrrev_b32_e32 v17, v13, v0
	v_lshlrev_b32_e32 v13, v13, v17
	v_mul_f16_sdwa v1, v1, v20 dst_sel:DWORD dst_unused:UNUSED_PAD src0_sel:DWORD src1_sel:WORD_1
	v_cmp_ne_u32_e32 vcc, v13, v0
	v_fma_f16 v1, v20, v14, -v1
	v_cndmask_b32_e64 v0, 0, 1, vcc
	v_add_u32_e32 v12, 0xfffffc10, v12
	v_cvt_f32_f16_e32 v1, v1
	v_or_b32_e32 v0, v17, v0
	v_lshl_or_b32 v13, v12, 12, v10
	v_cmp_gt_i32_e32 vcc, 1, v12
	v_cndmask_b32_e32 v0, v13, v0, vcc
	v_and_b32_e32 v13, 7, v0
	v_cmp_lt_i32_e32 vcc, 5, v13
	v_cmp_eq_u32_e64 s[0:1], 3, v13
	v_lshrrev_b32_e32 v13, 2, v0
	v_cvt_f64_f32_e32 v[0:1], v1
	s_or_b64 vcc, s[0:1], vcc
	v_addc_co_u32_e32 v13, vcc, 0, v13, vcc
	v_mul_f64 v[0:1], v[0:1], s[6:7]
	v_cmp_gt_i32_e32 vcc, 31, v12
	v_cndmask_b32_e32 v13, v7, v13, vcc
	v_cmp_ne_u32_e32 vcc, 0, v10
	v_cndmask_b32_e64 v10, 0, 1, vcc
	v_lshl_or_b32 v10, v10, 9, v7
	v_cmp_eq_u32_e32 vcc, s16, v12
	v_cndmask_b32_e32 v10, v13, v10, vcc
	v_and_or_b32 v0, v1, s18, v0
	v_lshrrev_b32_e32 v11, 16, v11
	v_cmp_ne_u32_e32 vcc, 0, v0
	v_and_or_b32 v14, v11, s10, v10
	v_cndmask_b32_e64 v0, 0, 1, vcc
	v_lshrrev_b32_e32 v10, 8, v1
	v_bfe_u32 v11, v1, 20, 11
	v_and_or_b32 v0, v10, s17, v0
	v_sub_u32_e32 v12, 0x3f1, v11
	v_or_b32_e32 v10, 0x1000, v0
	v_med3_i32 v12, v12, 0, 13
	v_lshrrev_b32_e32 v13, v12, v10
	v_lshlrev_b32_e32 v12, v12, v13
	v_cmp_ne_u32_e32 vcc, v12, v10
	v_cndmask_b32_e64 v10, 0, 1, vcc
	v_add_u32_e32 v12, 0xfffffc10, v11
	v_or_b32_e32 v10, v13, v10
	v_lshl_or_b32 v11, v12, 12, v0
	v_cmp_gt_i32_e32 vcc, 1, v12
	v_cndmask_b32_e32 v10, v11, v10, vcc
	v_and_b32_e32 v11, 7, v10
	v_cmp_lt_i32_e32 vcc, 5, v11
	v_cmp_eq_u32_e64 s[0:1], 3, v11
	v_lshrrev_b32_e32 v10, 2, v10
	s_or_b64 vcc, s[0:1], vcc
	v_addc_co_u32_e32 v13, vcc, 0, v10, vcc
	v_add_u32_e32 v10, 0xc00, v38
	ds_read2_b32 v[10:11], v10 offset1:96
	v_cmp_gt_i32_e32 vcc, 31, v12
	v_cndmask_b32_e32 v13, v7, v13, vcc
	v_cmp_ne_u32_e32 vcc, 0, v0
	v_cndmask_b32_e64 v0, 0, 1, vcc
	s_waitcnt lgkmcnt(0)
	v_lshrrev_b32_e32 v17, 16, v10
	s_waitcnt vmcnt(5)
	v_mul_f16_sdwa v18, v17, v21 dst_sel:DWORD dst_unused:UNUSED_PAD src0_sel:DWORD src1_sel:WORD_1
	v_fma_f16 v18, v10, v21, v18
	v_cvt_f32_f16_e32 v18, v18
	v_lshl_or_b32 v0, v0, 9, v7
	v_cmp_eq_u32_e32 vcc, s16, v12
	v_cndmask_b32_e32 v0, v13, v0, vcc
	v_cvt_f64_f32_e32 v[12:13], v18
	v_lshrrev_b32_e32 v1, 16, v1
	v_and_or_b32 v18, v1, s10, v0
	v_add_co_u32_e32 v5, vcc, s3, v5
	v_mul_f64 v[0:1], v[12:13], s[6:7]
	v_mov_b32_e32 v13, s2
	v_and_b32_e32 v14, 0xffff, v14
	v_addc_co_u32_e32 v6, vcc, v6, v13, vcc
	v_lshl_or_b32 v12, v18, 16, v14
	global_store_dword v[5:6], v12, off
	v_mul_f16_sdwa v10, v10, v21 dst_sel:DWORD dst_unused:UNUSED_PAD src0_sel:DWORD src1_sel:WORD_1
	v_and_or_b32 v0, v1, s18, v0
	v_cmp_ne_u32_e32 vcc, 0, v0
	v_cndmask_b32_e64 v0, 0, 1, vcc
	v_lshrrev_b32_e32 v12, 8, v1
	v_bfe_u32 v13, v1, 20, 11
	v_and_or_b32 v0, v12, s17, v0
	v_sub_u32_e32 v14, 0x3f1, v13
	v_or_b32_e32 v12, 0x1000, v0
	v_med3_i32 v14, v14, 0, 13
	v_lshrrev_b32_e32 v18, v14, v12
	v_lshlrev_b32_e32 v14, v14, v18
	v_cmp_ne_u32_e32 vcc, v14, v12
	v_fma_f16 v10, v21, v17, -v10
	v_cndmask_b32_e64 v12, 0, 1, vcc
	v_add_u32_e32 v14, 0xfffffc10, v13
	v_cvt_f32_f16_e32 v10, v10
	v_or_b32_e32 v12, v18, v12
	v_lshl_or_b32 v13, v14, 12, v0
	v_cmp_gt_i32_e32 vcc, 1, v14
	v_cndmask_b32_e32 v12, v13, v12, vcc
	v_and_b32_e32 v13, 7, v12
	v_cmp_lt_i32_e32 vcc, 5, v13
	v_cmp_eq_u32_e64 s[0:1], 3, v13
	v_lshrrev_b32_e32 v17, 2, v12
	v_cvt_f64_f32_e32 v[12:13], v10
	s_or_b64 vcc, s[0:1], vcc
	v_addc_co_u32_e32 v10, vcc, 0, v17, vcc
	v_mul_f64 v[12:13], v[12:13], s[6:7]
	v_cmp_gt_i32_e32 vcc, 31, v14
	v_cndmask_b32_e32 v10, v7, v10, vcc
	v_cmp_ne_u32_e32 vcc, 0, v0
	v_cndmask_b32_e64 v0, 0, 1, vcc
	v_lshl_or_b32 v0, v0, 9, v7
	v_cmp_eq_u32_e32 vcc, s16, v14
	v_cndmask_b32_e32 v0, v10, v0, vcc
	v_lshrrev_b32_e32 v1, 16, v1
	v_and_or_b32 v10, v1, s10, v0
	v_and_or_b32 v0, v13, s18, v12
	v_cmp_ne_u32_e32 vcc, 0, v0
	v_cndmask_b32_e64 v0, 0, 1, vcc
	v_lshrrev_b32_e32 v1, 8, v13
	v_bfe_u32 v12, v13, 20, 11
	v_and_or_b32 v0, v1, s17, v0
	v_sub_u32_e32 v14, 0x3f1, v12
	v_or_b32_e32 v1, 0x1000, v0
	v_med3_i32 v14, v14, 0, 13
	v_lshrrev_b32_e32 v17, v14, v1
	v_lshlrev_b32_e32 v14, v14, v17
	v_cmp_ne_u32_e32 vcc, v14, v1
	v_cndmask_b32_e64 v1, 0, 1, vcc
	v_add_u32_e32 v12, 0xfffffc10, v12
	v_or_b32_e32 v1, v17, v1
	v_lshl_or_b32 v14, v12, 12, v0
	v_cmp_gt_i32_e32 vcc, 1, v12
	v_cndmask_b32_e32 v1, v14, v1, vcc
	v_and_b32_e32 v14, 7, v1
	v_cmp_lt_i32_e32 vcc, 5, v14
	v_cmp_eq_u32_e64 s[0:1], 3, v14
	v_lshrrev_b32_e32 v14, 16, v11
	v_lshrrev_b32_e32 v1, 2, v1
	s_or_b64 vcc, s[0:1], vcc
	s_waitcnt vmcnt(5)
	v_mul_f16_sdwa v17, v14, v22 dst_sel:DWORD dst_unused:UNUSED_PAD src0_sel:DWORD src1_sel:WORD_1
	v_addc_co_u32_e32 v1, vcc, 0, v1, vcc
	v_fma_f16 v17, v11, v22, v17
	v_cmp_gt_i32_e32 vcc, 31, v12
	v_cvt_f32_f16_e32 v17, v17
	v_cndmask_b32_e32 v1, v7, v1, vcc
	v_cmp_ne_u32_e32 vcc, 0, v0
	v_cndmask_b32_e64 v0, 0, 1, vcc
	v_lshl_or_b32 v0, v0, 9, v7
	v_cmp_eq_u32_e32 vcc, s16, v12
	v_cndmask_b32_e32 v12, v1, v0, vcc
	v_cvt_f64_f32_e32 v[0:1], v17
	v_lshrrev_b32_e32 v13, 16, v13
	v_and_or_b32 v12, v13, s10, v12
	v_and_b32_e32 v10, 0xffff, v10
	v_mul_f64 v[0:1], v[0:1], s[6:7]
	v_lshl_or_b32 v10, v12, 16, v10
	v_mov_b32_e32 v12, s2
	v_add_co_u32_e32 v5, vcc, s3, v5
	v_addc_co_u32_e32 v6, vcc, v6, v12, vcc
	global_store_dword v[5:6], v10, off
	v_and_or_b32 v0, v1, s18, v0
	v_cmp_ne_u32_e32 vcc, 0, v0
	v_cndmask_b32_e64 v0, 0, 1, vcc
	v_lshrrev_b32_e32 v10, 8, v1
	v_bfe_u32 v12, v1, 20, 11
	v_and_or_b32 v0, v10, s17, v0
	v_sub_u32_e32 v13, 0x3f1, v12
	v_or_b32_e32 v10, 0x1000, v0
	v_med3_i32 v13, v13, 0, 13
	v_lshrrev_b32_e32 v17, v13, v10
	v_lshlrev_b32_e32 v13, v13, v17
	v_mul_f16_sdwa v11, v11, v22 dst_sel:DWORD dst_unused:UNUSED_PAD src0_sel:DWORD src1_sel:WORD_1
	v_cmp_ne_u32_e32 vcc, v13, v10
	v_fma_f16 v11, v22, v14, -v11
	v_cndmask_b32_e64 v10, 0, 1, vcc
	v_add_u32_e32 v12, 0xfffffc10, v12
	v_cvt_f32_f16_e32 v11, v11
	v_or_b32_e32 v10, v17, v10
	v_lshl_or_b32 v13, v12, 12, v0
	v_cmp_gt_i32_e32 vcc, 1, v12
	v_cndmask_b32_e32 v10, v13, v10, vcc
	v_and_b32_e32 v13, 7, v10
	v_cmp_lt_i32_e32 vcc, 5, v13
	v_cmp_eq_u32_e64 s[0:1], 3, v13
	v_lshrrev_b32_e32 v13, 2, v10
	v_cvt_f64_f32_e32 v[10:11], v11
	s_or_b64 vcc, s[0:1], vcc
	v_addc_co_u32_e32 v13, vcc, 0, v13, vcc
	v_mul_f64 v[10:11], v[10:11], s[6:7]
	v_cmp_gt_i32_e32 vcc, 31, v12
	v_cndmask_b32_e32 v13, v7, v13, vcc
	v_cmp_ne_u32_e32 vcc, 0, v0
	v_cndmask_b32_e64 v0, 0, 1, vcc
	v_lshl_or_b32 v0, v0, 9, v7
	v_cmp_eq_u32_e32 vcc, s16, v12
	v_cndmask_b32_e32 v0, v13, v0, vcc
	v_lshrrev_b32_e32 v1, 16, v1
	v_and_or_b32 v14, v1, s10, v0
	v_and_or_b32 v0, v11, s18, v10
	v_cmp_ne_u32_e32 vcc, 0, v0
	v_cndmask_b32_e64 v0, 0, 1, vcc
	v_lshrrev_b32_e32 v1, 8, v11
	v_bfe_u32 v10, v11, 20, 11
	v_and_or_b32 v0, v1, s17, v0
	v_sub_u32_e32 v12, 0x3f1, v10
	v_or_b32_e32 v1, 0x1000, v0
	v_med3_i32 v12, v12, 0, 13
	v_lshrrev_b32_e32 v13, v12, v1
	v_lshlrev_b32_e32 v12, v12, v13
	v_cmp_ne_u32_e32 vcc, v12, v1
	v_cndmask_b32_e64 v1, 0, 1, vcc
	v_add_u32_e32 v10, 0xfffffc10, v10
	v_or_b32_e32 v1, v13, v1
	v_lshl_or_b32 v12, v10, 12, v0
	v_cmp_gt_i32_e32 vcc, 1, v10
	v_cndmask_b32_e32 v1, v12, v1, vcc
	v_and_b32_e32 v12, 7, v1
	v_cmp_lt_i32_e32 vcc, 5, v12
	v_cmp_eq_u32_e64 s[0:1], 3, v12
	v_lshrrev_b32_e32 v1, 2, v1
	s_or_b64 vcc, s[0:1], vcc
	v_addc_co_u32_e32 v1, vcc, 0, v1, vcc
	v_cmp_gt_i32_e32 vcc, 31, v10
	v_cndmask_b32_e32 v1, v7, v1, vcc
	v_cmp_ne_u32_e32 vcc, 0, v0
	v_cndmask_b32_e64 v0, 0, 1, vcc
	v_lshl_or_b32 v0, v0, 9, v7
	v_cmp_eq_u32_e32 vcc, s16, v10
	v_cndmask_b32_e32 v0, v1, v0, vcc
	v_lshrrev_b32_e32 v1, 16, v11
	v_and_or_b32 v19, v1, s10, v0
	v_add_co_u32_e32 v0, vcc, s19, v15
	v_addc_co_u32_e32 v1, vcc, 0, v16, vcc
	global_load_dword v16, v[0:1], off offset:128
	v_add_u32_e32 v12, 0xe00, v38
	ds_read2_b32 v[12:13], v12 offset0:64 offset1:160
	v_mov_b32_e32 v15, s2
	v_add_co_u32_e32 v5, vcc, s3, v5
	v_and_b32_e32 v14, 0xffff, v14
	s_waitcnt lgkmcnt(0)
	v_lshrrev_b32_e32 v17, 16, v12
	s_waitcnt vmcnt(6)
	v_mul_f16_sdwa v18, v17, v23 dst_sel:DWORD dst_unused:UNUSED_PAD src0_sel:DWORD src1_sel:WORD_1
	v_fma_f16 v18, v12, v23, v18
	v_cvt_f32_f16_e32 v18, v18
	v_addc_co_u32_e32 v6, vcc, v6, v15, vcc
	v_lshl_or_b32 v14, v19, 16, v14
	v_cvt_f64_f32_e32 v[10:11], v18
	global_store_dword v[5:6], v14, off
	v_mul_f16_sdwa v12, v12, v23 dst_sel:DWORD dst_unused:UNUSED_PAD src0_sel:DWORD src1_sel:WORD_1
	v_fma_f16 v12, v23, v17, -v12
	v_mul_f64 v[10:11], v[10:11], s[6:7]
	v_cvt_f32_f16_e32 v12, v12
	v_and_or_b32 v10, v11, s18, v10
	v_cmp_ne_u32_e32 vcc, 0, v10
	v_cndmask_b32_e64 v10, 0, 1, vcc
	v_lshrrev_b32_e32 v14, 8, v11
	v_bfe_u32 v15, v11, 20, 11
	v_and_or_b32 v10, v14, s17, v10
	v_sub_u32_e32 v18, 0x3f1, v15
	v_or_b32_e32 v14, 0x1000, v10
	v_med3_i32 v18, v18, 0, 13
	v_lshrrev_b32_e32 v19, v18, v14
	v_lshlrev_b32_e32 v18, v18, v19
	v_cmp_ne_u32_e32 vcc, v18, v14
	v_cndmask_b32_e64 v14, 0, 1, vcc
	v_add_u32_e32 v18, 0xfffffc10, v15
	v_or_b32_e32 v14, v19, v14
	v_lshl_or_b32 v15, v18, 12, v10
	v_cmp_gt_i32_e32 vcc, 1, v18
	v_cndmask_b32_e32 v14, v15, v14, vcc
	v_and_b32_e32 v15, 7, v14
	v_cmp_lt_i32_e32 vcc, 5, v15
	v_cmp_eq_u32_e64 s[0:1], 3, v15
	v_lshrrev_b32_e32 v17, 2, v14
	v_cvt_f64_f32_e32 v[14:15], v12
	s_or_b64 vcc, s[0:1], vcc
	v_addc_co_u32_e32 v12, vcc, 0, v17, vcc
	v_mul_f64 v[14:15], v[14:15], s[6:7]
	v_cmp_gt_i32_e32 vcc, 31, v18
	v_cndmask_b32_e32 v12, v7, v12, vcc
	v_cmp_ne_u32_e32 vcc, 0, v10
	v_cndmask_b32_e64 v10, 0, 1, vcc
	v_lshl_or_b32 v10, v10, 9, v7
	v_cmp_eq_u32_e32 vcc, s16, v18
	v_cndmask_b32_e32 v10, v12, v10, vcc
	v_lshrrev_b32_e32 v11, 16, v11
	v_and_or_b32 v12, v11, s10, v10
	v_and_or_b32 v10, v15, s18, v14
	v_cmp_ne_u32_e32 vcc, 0, v10
	v_cndmask_b32_e64 v10, 0, 1, vcc
	v_lshrrev_b32_e32 v11, 8, v15
	v_bfe_u32 v14, v15, 20, 11
	v_and_or_b32 v10, v11, s17, v10
	v_sub_u32_e32 v17, 0x3f1, v14
	v_or_b32_e32 v11, 0x1000, v10
	v_med3_i32 v17, v17, 0, 13
	v_lshrrev_b32_e32 v18, v17, v11
	v_lshlrev_b32_e32 v17, v17, v18
	v_cmp_ne_u32_e32 vcc, v17, v11
	v_cndmask_b32_e64 v11, 0, 1, vcc
	v_add_u32_e32 v14, 0xfffffc10, v14
	v_or_b32_e32 v11, v18, v11
	global_load_dword v18, v[0:1], off offset:896
	v_lshl_or_b32 v17, v14, 12, v10
	v_cmp_gt_i32_e32 vcc, 1, v14
	v_cndmask_b32_e32 v11, v17, v11, vcc
	v_and_b32_e32 v17, 7, v11
	v_cmp_lt_i32_e32 vcc, 5, v17
	v_cmp_eq_u32_e64 s[0:1], 3, v17
	v_lshrrev_b32_e32 v17, 16, v13
	v_lshrrev_b32_e32 v11, 2, v11
	s_or_b64 vcc, s[0:1], vcc
	s_waitcnt vmcnt(2)
	v_mul_f16_sdwa v19, v17, v16 dst_sel:DWORD dst_unused:UNUSED_PAD src0_sel:DWORD src1_sel:WORD_1
	v_addc_co_u32_e32 v11, vcc, 0, v11, vcc
	v_fma_f16 v19, v13, v16, v19
	v_cmp_gt_i32_e32 vcc, 31, v14
	v_cvt_f32_f16_e32 v19, v19
	v_cndmask_b32_e32 v11, v7, v11, vcc
	v_cmp_ne_u32_e32 vcc, 0, v10
	v_cndmask_b32_e64 v10, 0, 1, vcc
	v_lshl_or_b32 v10, v10, 9, v7
	v_cmp_eq_u32_e32 vcc, s16, v14
	v_cndmask_b32_e32 v14, v11, v10, vcc
	v_cvt_f64_f32_e32 v[10:11], v19
	v_lshrrev_b32_e32 v15, 16, v15
	v_and_or_b32 v14, v15, s10, v14
	v_and_b32_e32 v12, 0xffff, v12
	v_mul_f64 v[10:11], v[10:11], s[6:7]
	v_lshl_or_b32 v12, v14, 16, v12
	v_mov_b32_e32 v14, s2
	v_add_co_u32_e32 v5, vcc, s3, v5
	v_addc_co_u32_e32 v6, vcc, v6, v14, vcc
	global_store_dword v[5:6], v12, off
	v_and_or_b32 v10, v11, s18, v10
	v_cmp_ne_u32_e32 vcc, 0, v10
	v_cndmask_b32_e64 v10, 0, 1, vcc
	v_lshrrev_b32_e32 v12, 8, v11
	v_bfe_u32 v14, v11, 20, 11
	v_and_or_b32 v10, v12, s17, v10
	v_sub_u32_e32 v15, 0x3f1, v14
	v_or_b32_e32 v12, 0x1000, v10
	v_med3_i32 v15, v15, 0, 13
	v_lshrrev_b32_e32 v19, v15, v12
	v_lshlrev_b32_e32 v15, v15, v19
	v_mul_f16_sdwa v13, v13, v16 dst_sel:DWORD dst_unused:UNUSED_PAD src0_sel:DWORD src1_sel:WORD_1
	v_cmp_ne_u32_e32 vcc, v15, v12
	v_fma_f16 v13, v16, v17, -v13
	v_cndmask_b32_e64 v12, 0, 1, vcc
	v_add_u32_e32 v14, 0xfffffc10, v14
	v_cvt_f32_f16_e32 v13, v13
	v_or_b32_e32 v12, v19, v12
	v_lshl_or_b32 v15, v14, 12, v10
	v_cmp_gt_i32_e32 vcc, 1, v14
	v_cndmask_b32_e32 v12, v15, v12, vcc
	v_and_b32_e32 v15, 7, v12
	v_cmp_lt_i32_e32 vcc, 5, v15
	v_cmp_eq_u32_e64 s[0:1], 3, v15
	v_lshrrev_b32_e32 v15, 2, v12
	v_cvt_f64_f32_e32 v[12:13], v13
	s_or_b64 vcc, s[0:1], vcc
	v_addc_co_u32_e32 v15, vcc, 0, v15, vcc
	v_mul_f64 v[12:13], v[12:13], s[6:7]
	v_cmp_gt_i32_e32 vcc, 31, v14
	v_cndmask_b32_e32 v15, v7, v15, vcc
	v_cmp_ne_u32_e32 vcc, 0, v10
	v_cndmask_b32_e64 v10, 0, 1, vcc
	v_lshl_or_b32 v10, v10, 9, v7
	v_cmp_eq_u32_e32 vcc, s16, v14
	v_cndmask_b32_e32 v10, v15, v10, vcc
	v_lshrrev_b32_e32 v11, 16, v11
	v_and_or_b32 v16, v11, s10, v10
	v_and_or_b32 v10, v13, s18, v12
	v_cmp_ne_u32_e32 vcc, 0, v10
	v_cndmask_b32_e64 v10, 0, 1, vcc
	v_lshrrev_b32_e32 v11, 8, v13
	v_and_or_b32 v12, v11, s17, v10
	v_bfe_u32 v11, v13, 20, 11
	v_sub_u32_e32 v14, 0x3f1, v11
	v_or_b32_e32 v10, 0x1000, v12
	v_med3_i32 v14, v14, 0, 13
	v_lshrrev_b32_e32 v15, v14, v10
	v_lshlrev_b32_e32 v14, v14, v15
	v_cmp_ne_u32_e32 vcc, v14, v10
	v_cndmask_b32_e64 v10, 0, 1, vcc
	v_add_u32_e32 v14, 0xfffffc10, v11
	v_or_b32_e32 v10, v15, v10
	v_lshl_or_b32 v11, v14, 12, v12
	v_cmp_gt_i32_e32 vcc, 1, v14
	v_cndmask_b32_e32 v10, v11, v10, vcc
	v_and_b32_e32 v11, 7, v10
	v_cmp_lt_i32_e32 vcc, 5, v11
	v_cmp_eq_u32_e64 s[0:1], 3, v11
	v_lshrrev_b32_e32 v10, 2, v10
	s_or_b64 vcc, s[0:1], vcc
	v_addc_co_u32_e32 v15, vcc, 0, v10, vcc
	v_add_u32_e32 v10, 0x1000, v38
	ds_read2_b32 v[10:11], v10 offset0:128 offset1:224
	v_cmp_gt_i32_e32 vcc, 31, v14
	v_cndmask_b32_e32 v15, v7, v15, vcc
	v_cmp_ne_u32_e32 vcc, 0, v12
	v_cndmask_b32_e64 v12, 0, 1, vcc
	s_waitcnt lgkmcnt(0)
	v_lshrrev_b32_e32 v17, 16, v10
	v_mul_f16_sdwa v19, v17, v9 dst_sel:DWORD dst_unused:UNUSED_PAD src0_sel:DWORD src1_sel:WORD_1
	v_fma_f16 v19, v10, v9, v19
	v_cvt_f32_f16_e32 v19, v19
	v_lshl_or_b32 v12, v12, 9, v7
	v_cmp_eq_u32_e32 vcc, s16, v14
	v_cndmask_b32_e32 v12, v15, v12, vcc
	v_cvt_f64_f32_e32 v[14:15], v19
	v_lshrrev_b32_e32 v13, 16, v13
	v_and_or_b32 v19, v13, s10, v12
	v_add_co_u32_e32 v5, vcc, s3, v5
	v_mul_f64 v[12:13], v[14:15], s[6:7]
	v_mov_b32_e32 v15, s2
	v_and_b32_e32 v16, 0xffff, v16
	v_addc_co_u32_e32 v6, vcc, v6, v15, vcc
	v_mul_f16_sdwa v10, v10, v9 dst_sel:DWORD dst_unused:UNUSED_PAD src0_sel:DWORD src1_sel:WORD_1
	v_lshl_or_b32 v14, v19, 16, v16
	v_fma_f16 v9, v9, v17, -v10
	v_and_or_b32 v12, v13, s18, v12
	v_cmp_ne_u32_e32 vcc, 0, v12
	global_store_dword v[5:6], v14, off
	v_cndmask_b32_e64 v12, 0, 1, vcc
	v_lshrrev_b32_e32 v14, 8, v13
	v_bfe_u32 v15, v13, 20, 11
	v_cvt_f32_f16_e32 v9, v9
	v_and_or_b32 v12, v14, s17, v12
	v_sub_u32_e32 v16, 0x3f1, v15
	v_or_b32_e32 v14, 0x1000, v12
	v_med3_i32 v16, v16, 0, 13
	v_lshrrev_b32_e32 v19, v16, v14
	v_lshlrev_b32_e32 v16, v16, v19
	v_cvt_f64_f32_e32 v[9:10], v9
	v_cmp_ne_u32_e32 vcc, v16, v14
	v_cndmask_b32_e64 v14, 0, 1, vcc
	v_add_u32_e32 v15, 0xfffffc10, v15
	v_or_b32_e32 v14, v19, v14
	v_lshl_or_b32 v16, v15, 12, v12
	v_cmp_gt_i32_e32 vcc, 1, v15
	v_cndmask_b32_e32 v14, v16, v14, vcc
	v_mul_f64 v[9:10], v[9:10], s[6:7]
	v_and_b32_e32 v16, 7, v14
	v_cmp_lt_i32_e32 vcc, 5, v16
	v_cmp_eq_u32_e64 s[0:1], 3, v16
	v_lshrrev_b32_e32 v14, 2, v14
	s_or_b64 vcc, s[0:1], vcc
	v_addc_co_u32_e32 v14, vcc, 0, v14, vcc
	v_cmp_gt_i32_e32 vcc, 31, v15
	v_cndmask_b32_e32 v14, v7, v14, vcc
	v_cmp_ne_u32_e32 vcc, 0, v12
	v_cndmask_b32_e64 v12, 0, 1, vcc
	v_lshl_or_b32 v12, v12, 9, v7
	v_cmp_eq_u32_e32 vcc, s16, v15
	v_and_or_b32 v9, v10, s18, v9
	v_cndmask_b32_e32 v12, v14, v12, vcc
	v_lshrrev_b32_e32 v13, 16, v13
	v_cmp_ne_u32_e32 vcc, 0, v9
	v_and_or_b32 v14, v13, s10, v12
	v_cndmask_b32_e64 v9, 0, 1, vcc
	v_lshrrev_b32_e32 v12, 8, v10
	v_bfe_u32 v13, v10, 20, 11
	v_and_or_b32 v9, v12, s17, v9
	v_sub_u32_e32 v15, 0x3f1, v13
	v_or_b32_e32 v12, 0x1000, v9
	v_med3_i32 v15, v15, 0, 13
	v_lshrrev_b32_e32 v16, v15, v12
	v_lshlrev_b32_e32 v15, v15, v16
	v_cmp_ne_u32_e32 vcc, v15, v12
	v_cndmask_b32_e64 v12, 0, 1, vcc
	v_add_u32_e32 v15, 0xfffffc10, v13
	v_or_b32_e32 v12, v16, v12
	v_lshl_or_b32 v13, v15, 12, v9
	v_cmp_gt_i32_e32 vcc, 1, v15
	v_cndmask_b32_e32 v12, v13, v12, vcc
	v_and_b32_e32 v13, 7, v12
	v_cmp_lt_i32_e32 vcc, 5, v13
	v_cmp_eq_u32_e64 s[0:1], 3, v13
	v_lshrrev_b32_e32 v12, 2, v12
	s_or_b64 vcc, s[0:1], vcc
	v_addc_co_u32_e32 v12, vcc, 0, v12, vcc
	v_cmp_gt_i32_e32 vcc, 31, v15
	v_cndmask_b32_e32 v16, v7, v12, vcc
	v_cmp_ne_u32_e32 vcc, 0, v9
	v_mad_u64_u32 v[12:13], s[0:1], s8, v8, 0
	v_cndmask_b32_e64 v9, 0, 1, vcc
	v_lshl_or_b32 v9, v9, 9, v7
	v_cmp_eq_u32_e32 vcc, s16, v15
	v_cndmask_b32_e32 v15, v16, v9, vcc
	v_lshrrev_b32_e32 v16, 16, v11
	v_mov_b32_e32 v9, v13
	s_waitcnt vmcnt(2)
	v_mul_f16_sdwa v13, v16, v18 dst_sel:DWORD dst_unused:UNUSED_PAD src0_sel:DWORD src1_sel:WORD_1
	v_fma_f16 v13, v11, v18, v13
	v_cvt_f32_f16_e32 v13, v13
	v_mad_u64_u32 v[8:9], s[0:1], s9, v8, v[9:10]
	v_lshrrev_b32_e32 v17, 16, v10
	v_cvt_f64_f32_e32 v[9:10], v13
	v_mov_b32_e32 v13, v8
	v_lshlrev_b64 v[12:13], 2, v[12:13]
	v_and_or_b32 v15, v17, s10, v15
	v_mul_f64 v[8:9], v[9:10], s[6:7]
	v_and_b32_e32 v14, 0xffff, v14
	v_add_co_u32_e32 v3, vcc, v3, v12
	v_lshl_or_b32 v10, v15, 16, v14
	v_addc_co_u32_e32 v4, vcc, v4, v13, vcc
	global_store_dword v[3:4], v10, off
	v_and_or_b32 v3, v9, s18, v8
	v_cmp_ne_u32_e32 vcc, 0, v3
	v_cndmask_b32_e64 v3, 0, 1, vcc
	v_lshrrev_b32_e32 v4, 8, v9
	v_and_or_b32 v8, v4, s17, v3
	v_bfe_u32 v4, v9, 20, 11
	v_sub_u32_e32 v10, 0x3f1, v4
	v_or_b32_e32 v3, 0x1000, v8
	v_med3_i32 v10, v10, 0, 13
	v_lshrrev_b32_e32 v12, v10, v3
	v_lshlrev_b32_e32 v10, v10, v12
	v_mul_f16_sdwa v11, v11, v18 dst_sel:DWORD dst_unused:UNUSED_PAD src0_sel:DWORD src1_sel:WORD_1
	v_cmp_ne_u32_e32 vcc, v10, v3
	v_fma_f16 v11, v18, v16, -v11
	v_cndmask_b32_e64 v3, 0, 1, vcc
	v_add_u32_e32 v10, 0xfffffc10, v4
	v_cvt_f32_f16_e32 v11, v11
	v_or_b32_e32 v3, v12, v3
	v_lshl_or_b32 v4, v10, 12, v8
	v_cmp_gt_i32_e32 vcc, 1, v10
	v_cndmask_b32_e32 v3, v4, v3, vcc
	v_and_b32_e32 v4, 7, v3
	v_cmp_lt_i32_e32 vcc, 5, v4
	v_cmp_eq_u32_e64 s[0:1], 3, v4
	v_lshrrev_b32_e32 v12, 2, v3
	v_cvt_f64_f32_e32 v[3:4], v11
	s_or_b64 vcc, s[0:1], vcc
	v_addc_co_u32_e32 v11, vcc, 0, v12, vcc
	v_mul_f64 v[3:4], v[3:4], s[6:7]
	v_cmp_gt_i32_e32 vcc, 31, v10
	v_cndmask_b32_e32 v11, v7, v11, vcc
	v_cmp_ne_u32_e32 vcc, 0, v8
	v_cndmask_b32_e64 v8, 0, 1, vcc
	v_lshl_or_b32 v8, v8, 9, v7
	v_cmp_eq_u32_e32 vcc, s16, v10
	v_cndmask_b32_e32 v8, v11, v8, vcc
	v_and_or_b32 v3, v4, s18, v3
	v_lshrrev_b32_e32 v9, 16, v9
	v_cmp_ne_u32_e32 vcc, 0, v3
	v_and_or_b32 v8, v9, s10, v8
	v_cndmask_b32_e64 v3, 0, 1, vcc
	v_lshrrev_b32_e32 v9, 8, v4
	v_bfe_u32 v10, v4, 20, 11
	v_and_or_b32 v3, v9, s17, v3
	v_sub_u32_e32 v11, 0x3f1, v10
	v_or_b32_e32 v9, 0x1000, v3
	v_med3_i32 v11, v11, 0, 13
	v_lshrrev_b32_e32 v12, v11, v9
	v_lshlrev_b32_e32 v11, v11, v12
	v_cmp_ne_u32_e32 vcc, v11, v9
	v_cndmask_b32_e64 v9, 0, 1, vcc
	v_add_u32_e32 v10, 0xfffffc10, v10
	v_or_b32_e32 v9, v12, v9
	v_lshl_or_b32 v11, v10, 12, v3
	v_cmp_gt_i32_e32 vcc, 1, v10
	v_cndmask_b32_e32 v9, v11, v9, vcc
	v_and_b32_e32 v11, 7, v9
	v_cmp_lt_i32_e32 vcc, 5, v11
	v_cmp_eq_u32_e64 s[0:1], 3, v11
	v_lshrrev_b32_e32 v9, 2, v9
	s_or_b64 vcc, s[0:1], vcc
	v_addc_co_u32_e32 v9, vcc, 0, v9, vcc
	v_cmp_gt_i32_e32 vcc, 31, v10
	v_cndmask_b32_e32 v9, v7, v9, vcc
	v_cmp_ne_u32_e32 vcc, 0, v3
	v_cndmask_b32_e64 v3, 0, 1, vcc
	v_lshl_or_b32 v3, v3, 9, v7
	v_cmp_eq_u32_e32 vcc, s16, v10
	v_cndmask_b32_e32 v9, v9, v3, vcc
	v_mad_u64_u32 v[2:3], s[0:1], s8, v2, v[5:6]
	v_lshrrev_b32_e32 v4, 16, v4
	v_and_or_b32 v4, v4, s10, v9
	v_and_b32_e32 v5, 0xffff, v8
	v_lshl_or_b32 v4, v4, 16, v5
	v_add_u32_e32 v3, s4, v3
	global_store_dword v[2:3], v4, off
	global_load_dword v6, v[0:1], off offset:1280
	v_add_u32_e32 v4, 0x1400, v38
	ds_read2_b32 v[4:5], v4 offset0:64 offset1:160
	s_waitcnt lgkmcnt(0)
	v_lshrrev_b32_e32 v10, 16, v4
	s_waitcnt vmcnt(0)
	v_mul_f16_sdwa v8, v10, v6 dst_sel:DWORD dst_unused:UNUSED_PAD src0_sel:DWORD src1_sel:WORD_1
	v_fma_f16 v8, v4, v6, v8
	v_cvt_f32_f16_e32 v8, v8
	v_mul_f16_sdwa v4, v4, v6 dst_sel:DWORD dst_unused:UNUSED_PAD src0_sel:DWORD src1_sel:WORD_1
	v_fma_f16 v4, v6, v10, -v4
	v_cvt_f32_f16_e32 v4, v4
	v_cvt_f64_f32_e32 v[8:9], v8
	v_mul_f64 v[8:9], v[8:9], s[6:7]
	v_and_or_b32 v8, v9, s18, v8
	v_cmp_ne_u32_e32 vcc, 0, v8
	v_cndmask_b32_e64 v8, 0, 1, vcc
	v_lshrrev_b32_e32 v11, 8, v9
	v_bfe_u32 v12, v9, 20, 11
	v_and_or_b32 v8, v11, s17, v8
	v_sub_u32_e32 v13, 0x3f1, v12
	v_or_b32_e32 v11, 0x1000, v8
	v_med3_i32 v13, v13, 0, 13
	v_lshrrev_b32_e32 v14, v13, v11
	v_lshlrev_b32_e32 v13, v13, v14
	v_cmp_ne_u32_e32 vcc, v13, v11
	v_cndmask_b32_e64 v11, 0, 1, vcc
	v_add_u32_e32 v12, 0xfffffc10, v12
	v_or_b32_e32 v11, v14, v11
	v_lshl_or_b32 v13, v12, 12, v8
	v_cmp_gt_i32_e32 vcc, 1, v12
	v_cndmask_b32_e32 v11, v13, v11, vcc
	v_and_b32_e32 v13, 7, v11
	v_lshrrev_b32_e32 v6, 2, v11
	v_cvt_f64_f32_e32 v[10:11], v4
	v_cmp_lt_i32_e32 vcc, 5, v13
	v_cmp_eq_u32_e64 s[0:1], 3, v13
	s_or_b64 vcc, s[0:1], vcc
	v_mul_f64 v[10:11], v[10:11], s[6:7]
	v_addc_co_u32_e32 v4, vcc, 0, v6, vcc
	v_cmp_gt_i32_e32 vcc, 31, v12
	v_cndmask_b32_e32 v4, v7, v4, vcc
	v_cmp_ne_u32_e32 vcc, 0, v8
	v_cndmask_b32_e64 v6, 0, 1, vcc
	v_lshl_or_b32 v6, v6, 9, v7
	v_cmp_eq_u32_e32 vcc, s16, v12
	v_cndmask_b32_e32 v4, v4, v6, vcc
	v_lshrrev_b32_e32 v6, 16, v9
	v_and_or_b32 v4, v6, s10, v4
	v_and_or_b32 v6, v11, s18, v10
	v_cmp_ne_u32_e32 vcc, 0, v6
	v_cndmask_b32_e64 v6, 0, 1, vcc
	v_lshrrev_b32_e32 v8, 8, v11
	v_bfe_u32 v9, v11, 20, 11
	v_and_or_b32 v6, v8, s17, v6
	v_sub_u32_e32 v10, 0x3f1, v9
	v_or_b32_e32 v8, 0x1000, v6
	v_med3_i32 v10, v10, 0, 13
	v_lshrrev_b32_e32 v12, v10, v8
	v_lshlrev_b32_e32 v10, v10, v12
	v_cmp_ne_u32_e32 vcc, v10, v8
	v_cndmask_b32_e64 v8, 0, 1, vcc
	v_add_u32_e32 v9, 0xfffffc10, v9
	v_or_b32_e32 v8, v12, v8
	v_lshl_or_b32 v10, v9, 12, v6
	v_cmp_gt_i32_e32 vcc, 1, v9
	v_cndmask_b32_e32 v8, v10, v8, vcc
	v_and_b32_e32 v10, 7, v8
	v_cmp_lt_i32_e32 vcc, 5, v10
	v_cmp_eq_u32_e64 s[0:1], 3, v10
	v_lshrrev_b32_e32 v8, 2, v8
	s_or_b64 vcc, s[0:1], vcc
	v_addc_co_u32_e32 v8, vcc, 0, v8, vcc
	v_cmp_gt_i32_e32 vcc, 31, v9
	v_cndmask_b32_e32 v8, v7, v8, vcc
	v_cmp_ne_u32_e32 vcc, 0, v6
	v_cndmask_b32_e64 v6, 0, 1, vcc
	v_lshl_or_b32 v6, v6, 9, v7
	v_cmp_eq_u32_e32 vcc, s16, v9
	v_cndmask_b32_e32 v6, v8, v6, vcc
	v_lshrrev_b32_e32 v8, 16, v11
	v_and_or_b32 v6, v8, s10, v6
	v_and_b32_e32 v4, 0xffff, v4
	v_lshl_or_b32 v4, v6, 16, v4
	v_mov_b32_e32 v6, s2
	v_add_co_u32_e32 v2, vcc, s3, v2
	v_addc_co_u32_e32 v3, vcc, v3, v6, vcc
	global_store_dword v[2:3], v4, off
	global_load_dword v4, v[0:1], off offset:1664
	v_lshrrev_b32_e32 v6, 16, v5
	s_waitcnt vmcnt(0)
	v_mul_f16_sdwa v0, v6, v4 dst_sel:DWORD dst_unused:UNUSED_PAD src0_sel:DWORD src1_sel:WORD_1
	v_fma_f16 v0, v5, v4, v0
	v_cvt_f32_f16_e32 v0, v0
	v_mul_f16_sdwa v5, v5, v4 dst_sel:DWORD dst_unused:UNUSED_PAD src0_sel:DWORD src1_sel:WORD_1
	v_fma_f16 v4, v4, v6, -v5
	v_cvt_f32_f16_e32 v4, v4
	v_cvt_f64_f32_e32 v[0:1], v0
	v_cvt_f64_f32_e32 v[4:5], v4
	v_mul_f64 v[0:1], v[0:1], s[6:7]
	v_mul_f64 v[4:5], v[4:5], s[6:7]
	v_and_or_b32 v0, v1, s18, v0
	v_cmp_ne_u32_e32 vcc, 0, v0
	v_cndmask_b32_e64 v0, 0, 1, vcc
	v_lshrrev_b32_e32 v8, 8, v1
	v_bfe_u32 v9, v1, 20, 11
	v_and_or_b32 v0, v8, s17, v0
	v_sub_u32_e32 v10, 0x3f1, v9
	v_or_b32_e32 v8, 0x1000, v0
	v_med3_i32 v10, v10, 0, 13
	v_lshrrev_b32_e32 v11, v10, v8
	v_lshlrev_b32_e32 v10, v10, v11
	v_cmp_ne_u32_e32 vcc, v10, v8
	v_cndmask_b32_e64 v8, 0, 1, vcc
	v_add_u32_e32 v9, 0xfffffc10, v9
	v_or_b32_e32 v8, v11, v8
	v_lshl_or_b32 v10, v9, 12, v0
	v_cmp_gt_i32_e32 vcc, 1, v9
	v_cndmask_b32_e32 v8, v10, v8, vcc
	v_and_b32_e32 v10, 7, v8
	v_cmp_lt_i32_e32 vcc, 5, v10
	v_cmp_eq_u32_e64 s[0:1], 3, v10
	v_lshrrev_b32_e32 v6, 2, v8
	s_or_b64 vcc, s[0:1], vcc
	v_addc_co_u32_e32 v6, vcc, 0, v6, vcc
	v_cmp_gt_i32_e32 vcc, 31, v9
	v_cndmask_b32_e32 v6, v7, v6, vcc
	v_cmp_ne_u32_e32 vcc, 0, v0
	v_cndmask_b32_e64 v0, 0, 1, vcc
	v_lshl_or_b32 v0, v0, 9, v7
	v_cmp_eq_u32_e32 vcc, s16, v9
	v_cndmask_b32_e32 v0, v6, v0, vcc
	v_lshrrev_b32_e32 v1, 16, v1
	v_and_or_b32 v0, v1, s10, v0
	v_and_or_b32 v1, v5, s18, v4
	v_cmp_ne_u32_e32 vcc, 0, v1
	v_cndmask_b32_e64 v1, 0, 1, vcc
	v_lshrrev_b32_e32 v4, 8, v5
	v_bfe_u32 v6, v5, 20, 11
	v_and_or_b32 v1, v4, s17, v1
	v_sub_u32_e32 v8, 0x3f1, v6
	v_or_b32_e32 v4, 0x1000, v1
	v_med3_i32 v8, v8, 0, 13
	v_lshrrev_b32_e32 v9, v8, v4
	v_lshlrev_b32_e32 v8, v8, v9
	v_cmp_ne_u32_e32 vcc, v8, v4
	v_cndmask_b32_e64 v4, 0, 1, vcc
	v_add_u32_e32 v6, 0xfffffc10, v6
	v_or_b32_e32 v4, v9, v4
	v_lshl_or_b32 v8, v6, 12, v1
	v_cmp_gt_i32_e32 vcc, 1, v6
	v_cndmask_b32_e32 v4, v8, v4, vcc
	v_and_b32_e32 v8, 7, v4
	v_cmp_lt_i32_e32 vcc, 5, v8
	v_cmp_eq_u32_e64 s[0:1], 3, v8
	v_lshrrev_b32_e32 v4, 2, v4
	s_or_b64 vcc, s[0:1], vcc
	v_addc_co_u32_e32 v4, vcc, 0, v4, vcc
	v_cmp_gt_i32_e32 vcc, 31, v6
	v_cndmask_b32_e32 v4, v7, v4, vcc
	v_cmp_ne_u32_e32 vcc, 0, v1
	v_cndmask_b32_e64 v1, 0, 1, vcc
	v_lshl_or_b32 v1, v1, 9, v7
	v_cmp_eq_u32_e32 vcc, s16, v6
	v_cndmask_b32_e32 v1, v4, v1, vcc
	v_lshrrev_b32_e32 v4, 16, v5
	v_and_or_b32 v1, v4, s10, v1
	v_and_b32_e32 v0, 0xffff, v0
	v_lshl_or_b32 v4, v1, 16, v0
	v_mov_b32_e32 v1, s2
	v_add_co_u32_e32 v0, vcc, s3, v2
	v_addc_co_u32_e32 v1, vcc, v3, v1, vcc
	global_store_dword v[0:1], v4, off
.LBB0_23:
	s_endpgm
	.section	.rodata,"a",@progbits
	.p2align	6, 0x0
	.amdhsa_kernel bluestein_single_fwd_len1536_dim1_half_op_CI_CI
		.amdhsa_group_segment_fixed_size 6144
		.amdhsa_private_segment_fixed_size 0
		.amdhsa_kernarg_size 104
		.amdhsa_user_sgpr_count 6
		.amdhsa_user_sgpr_private_segment_buffer 1
		.amdhsa_user_sgpr_dispatch_ptr 0
		.amdhsa_user_sgpr_queue_ptr 0
		.amdhsa_user_sgpr_kernarg_segment_ptr 1
		.amdhsa_user_sgpr_dispatch_id 0
		.amdhsa_user_sgpr_flat_scratch_init 0
		.amdhsa_user_sgpr_private_segment_size 0
		.amdhsa_uses_dynamic_stack 0
		.amdhsa_system_sgpr_private_segment_wavefront_offset 0
		.amdhsa_system_sgpr_workgroup_id_x 1
		.amdhsa_system_sgpr_workgroup_id_y 0
		.amdhsa_system_sgpr_workgroup_id_z 0
		.amdhsa_system_sgpr_workgroup_info 0
		.amdhsa_system_vgpr_workitem_id 0
		.amdhsa_next_free_vgpr 77
		.amdhsa_next_free_sgpr 20
		.amdhsa_reserve_vcc 1
		.amdhsa_reserve_flat_scratch 0
		.amdhsa_float_round_mode_32 0
		.amdhsa_float_round_mode_16_64 0
		.amdhsa_float_denorm_mode_32 3
		.amdhsa_float_denorm_mode_16_64 3
		.amdhsa_dx10_clamp 1
		.amdhsa_ieee_mode 1
		.amdhsa_fp16_overflow 0
		.amdhsa_exception_fp_ieee_invalid_op 0
		.amdhsa_exception_fp_denorm_src 0
		.amdhsa_exception_fp_ieee_div_zero 0
		.amdhsa_exception_fp_ieee_overflow 0
		.amdhsa_exception_fp_ieee_underflow 0
		.amdhsa_exception_fp_ieee_inexact 0
		.amdhsa_exception_int_div_zero 0
	.end_amdhsa_kernel
	.text
.Lfunc_end0:
	.size	bluestein_single_fwd_len1536_dim1_half_op_CI_CI, .Lfunc_end0-bluestein_single_fwd_len1536_dim1_half_op_CI_CI
                                        ; -- End function
	.section	.AMDGPU.csdata,"",@progbits
; Kernel info:
; codeLenInByte = 19284
; NumSgprs: 24
; NumVgprs: 77
; ScratchSize: 0
; MemoryBound: 0
; FloatMode: 240
; IeeeMode: 1
; LDSByteSize: 6144 bytes/workgroup (compile time only)
; SGPRBlocks: 2
; VGPRBlocks: 19
; NumSGPRsForWavesPerEU: 24
; NumVGPRsForWavesPerEU: 77
; Occupancy: 3
; WaveLimiterHint : 1
; COMPUTE_PGM_RSRC2:SCRATCH_EN: 0
; COMPUTE_PGM_RSRC2:USER_SGPR: 6
; COMPUTE_PGM_RSRC2:TRAP_HANDLER: 0
; COMPUTE_PGM_RSRC2:TGID_X_EN: 1
; COMPUTE_PGM_RSRC2:TGID_Y_EN: 0
; COMPUTE_PGM_RSRC2:TGID_Z_EN: 0
; COMPUTE_PGM_RSRC2:TIDIG_COMP_CNT: 0
	.type	__hip_cuid_fd222cf06766032a,@object ; @__hip_cuid_fd222cf06766032a
	.section	.bss,"aw",@nobits
	.globl	__hip_cuid_fd222cf06766032a
__hip_cuid_fd222cf06766032a:
	.byte	0                               ; 0x0
	.size	__hip_cuid_fd222cf06766032a, 1

	.ident	"AMD clang version 19.0.0git (https://github.com/RadeonOpenCompute/llvm-project roc-6.4.0 25133 c7fe45cf4b819c5991fe208aaa96edf142730f1d)"
	.section	".note.GNU-stack","",@progbits
	.addrsig
	.addrsig_sym __hip_cuid_fd222cf06766032a
	.amdgpu_metadata
---
amdhsa.kernels:
  - .args:
      - .actual_access:  read_only
        .address_space:  global
        .offset:         0
        .size:           8
        .value_kind:     global_buffer
      - .actual_access:  read_only
        .address_space:  global
        .offset:         8
        .size:           8
        .value_kind:     global_buffer
      - .actual_access:  read_only
        .address_space:  global
        .offset:         16
        .size:           8
        .value_kind:     global_buffer
      - .actual_access:  read_only
        .address_space:  global
        .offset:         24
        .size:           8
        .value_kind:     global_buffer
      - .actual_access:  read_only
        .address_space:  global
        .offset:         32
        .size:           8
        .value_kind:     global_buffer
      - .offset:         40
        .size:           8
        .value_kind:     by_value
      - .address_space:  global
        .offset:         48
        .size:           8
        .value_kind:     global_buffer
      - .address_space:  global
        .offset:         56
        .size:           8
        .value_kind:     global_buffer
      - .address_space:  global
        .offset:         64
        .size:           8
        .value_kind:     global_buffer
      - .address_space:  global
        .offset:         72
        .size:           8
        .value_kind:     global_buffer
      - .offset:         80
        .size:           4
        .value_kind:     by_value
      - .address_space:  global
        .offset:         88
        .size:           8
        .value_kind:     global_buffer
      - .address_space:  global
        .offset:         96
        .size:           8
        .value_kind:     global_buffer
    .group_segment_fixed_size: 6144
    .kernarg_segment_align: 8
    .kernarg_segment_size: 104
    .language:       OpenCL C
    .language_version:
      - 2
      - 0
    .max_flat_workgroup_size: 256
    .name:           bluestein_single_fwd_len1536_dim1_half_op_CI_CI
    .private_segment_fixed_size: 0
    .sgpr_count:     24
    .sgpr_spill_count: 0
    .symbol:         bluestein_single_fwd_len1536_dim1_half_op_CI_CI.kd
    .uniform_work_group_size: 1
    .uses_dynamic_stack: false
    .vgpr_count:     77
    .vgpr_spill_count: 0
    .wavefront_size: 64
amdhsa.target:   amdgcn-amd-amdhsa--gfx906
amdhsa.version:
  - 1
  - 2
...

	.end_amdgpu_metadata
